;; amdgpu-corpus repo=ROCm/rocFFT kind=compiled arch=gfx1030 opt=O3
	.text
	.amdgcn_target "amdgcn-amd-amdhsa--gfx1030"
	.amdhsa_code_object_version 6
	.protected	bluestein_single_fwd_len640_dim1_half_op_CI_CI ; -- Begin function bluestein_single_fwd_len640_dim1_half_op_CI_CI
	.globl	bluestein_single_fwd_len640_dim1_half_op_CI_CI
	.p2align	8
	.type	bluestein_single_fwd_len640_dim1_half_op_CI_CI,@function
bluestein_single_fwd_len640_dim1_half_op_CI_CI: ; @bluestein_single_fwd_len640_dim1_half_op_CI_CI
; %bb.0:
	s_load_dwordx4 s[12:15], s[4:5], 0x28
	v_lshrrev_b32_e32 v1, 6, v0
	v_mov_b32_e32 v5, 0
	s_mov_b32 s0, exec_lo
	v_lshl_or_b32 v27, s6, 1, v1
	v_mov_b32_e32 v28, v5
	s_waitcnt lgkmcnt(0)
	v_cmpx_gt_u64_e64 s[12:13], v[27:28]
	s_cbranch_execz .LBB0_23
; %bb.1:
	s_load_dwordx4 s[8:11], s[4:5], 0x18
	v_and_b32_e32 v49, 63, v0
	v_and_b32_e32 v0, 64, v0
	v_lshlrev_b32_e32 v9, 2, v49
	s_waitcnt lgkmcnt(0)
	s_load_dwordx4 s[0:3], s[8:9], 0x0
	s_load_dwordx2 s[8:9], s[4:5], 0x0
	s_waitcnt lgkmcnt(0)
	v_mad_u64_u32 v[1:2], null, s2, v27, 0
	v_mad_u64_u32 v[3:4], null, s0, v49, 0
	v_add_co_u32 v25, s2, s8, v9
	s_mul_hi_u32 s6, s0, 0x50
	v_add_co_ci_u32_e64 v26, null, s9, 0, s2
	s_mul_i32 s2, s0, 0x50
	v_mad_u64_u32 v[6:7], null, s3, v27, v[2:3]
	v_mad_u64_u32 v[7:8], null, s1, v49, v[4:5]
	s_mul_i32 s3, s1, 0x50
	s_add_i32 s3, s6, s3
	v_mov_b32_e32 v2, v6
	s_lshl_b64 s[6:7], s[2:3], 2
	v_mov_b32_e32 v4, v7
	s_load_dwordx2 s[2:3], s[4:5], 0x38
	v_lshlrev_b64 v[1:2], 2, v[1:2]
	v_lshlrev_b64 v[3:4], 2, v[3:4]
	v_add_co_u32 v1, vcc_lo, s14, v1
	v_add_co_ci_u32_e32 v2, vcc_lo, s15, v2, vcc_lo
	v_add_co_u32 v1, vcc_lo, v1, v3
	v_add_co_ci_u32_e32 v2, vcc_lo, v2, v4, vcc_lo
	;; [unrolled: 2-line block ×3, first 2 shown]
	global_load_dword v8, v[1:2], off
	v_add_co_u32 v1, vcc_lo, v3, s6
	v_add_co_ci_u32_e32 v2, vcc_lo, s7, v4, vcc_lo
	s_clause 0x1
	global_load_dword v51, v9, s[8:9]
	global_load_dword v50, v9, s[8:9] offset:320
	v_add_co_u32 v6, vcc_lo, v1, s6
	s_clause 0x1
	global_load_dword v10, v[3:4], off
	global_load_dword v11, v[1:2], off
	v_add_co_ci_u32_e32 v7, vcc_lo, s7, v2, vcc_lo
	v_add_co_u32 v1, vcc_lo, v6, s6
	s_clause 0x1
	global_load_dword v48, v9, s[8:9] offset:640
	global_load_dword v47, v9, s[8:9] offset:960
	v_add_co_ci_u32_e32 v2, vcc_lo, s7, v7, vcc_lo
	v_add_co_u32 v3, vcc_lo, v1, s6
	global_load_dword v12, v[6:7], off
	v_add_co_ci_u32_e32 v4, vcc_lo, s7, v2, vcc_lo
	v_add_co_u32 v6, vcc_lo, v3, s6
	v_add_co_ci_u32_e32 v7, vcc_lo, s7, v4, vcc_lo
	global_load_dword v13, v[1:2], off
	s_clause 0x1
	global_load_dword v46, v9, s[8:9] offset:1280
	global_load_dword v45, v9, s[8:9] offset:1600
	global_load_dword v14, v[3:4], off
	global_load_dword v15, v[6:7], off
	v_add_co_u32 v1, vcc_lo, v6, s6
	v_add_co_ci_u32_e32 v2, vcc_lo, s7, v7, vcc_lo
	v_add_co_u32 v23, vcc_lo, 0x800, v25
	v_add_co_ci_u32_e32 v24, vcc_lo, 0, v26, vcc_lo
	global_load_dword v7, v[1:2], off
	s_clause 0x1
	global_load_dword v44, v9, s[8:9] offset:1920
	global_load_dword v43, v[23:24], off offset:192
	v_cmp_ne_u32_e32 vcc_lo, 0, v0
	s_load_dwordx4 s[8:11], s[10:11], 0x0
	v_or_b32_e32 v4, 64, v49
	v_cndmask_b32_e64 v53, 0, 0x280, vcc_lo
	v_cmp_gt_u64_e32 vcc_lo, 0x50, v[4:5]
	v_or_b32_e32 v0, v53, v49
	v_lshl_or_b32 v42, v53, 2, v9
	v_lshlrev_b32_e32 v52, 2, v0
	v_add_nc_u32_e32 v3, 0x200, v42
	v_add_nc_u32_e32 v6, 0x400, v42
	s_waitcnt vmcnt(15)
	v_lshrrev_b32_e32 v9, 16, v8
	s_waitcnt vmcnt(14)
	v_mul_f16_sdwa v0, v51, v8 dst_sel:DWORD dst_unused:UNUSED_PAD src0_sel:WORD_1 src1_sel:DWORD
	v_mul_f16_sdwa v16, v51, v9 dst_sel:DWORD dst_unused:UNUSED_PAD src0_sel:WORD_1 src1_sel:DWORD
	s_waitcnt vmcnt(12)
	v_lshrrev_b32_e32 v17, 16, v10
	s_waitcnt vmcnt(11)
	v_lshrrev_b32_e32 v18, 16, v11
	v_fma_f16 v0, v51, v9, -v0
	v_mul_f16_sdwa v9, v50, v10 dst_sel:DWORD dst_unused:UNUSED_PAD src0_sel:WORD_1 src1_sel:DWORD
	v_fmac_f16_e32 v16, v51, v8
	v_mul_f16_sdwa v8, v50, v17 dst_sel:DWORD dst_unused:UNUSED_PAD src0_sel:WORD_1 src1_sel:DWORD
	s_waitcnt vmcnt(10)
	v_mul_f16_sdwa v19, v48, v11 dst_sel:DWORD dst_unused:UNUSED_PAD src0_sel:WORD_1 src1_sel:DWORD
	v_fma_f16 v9, v50, v17, -v9
	v_pack_b32_f16 v0, v16, v0
	v_fmac_f16_e32 v8, v50, v10
	v_mul_f16_sdwa v10, v48, v18 dst_sel:DWORD dst_unused:UNUSED_PAD src0_sel:WORD_1 src1_sel:DWORD
	v_fma_f16 v16, v48, v18, -v19
	s_waitcnt vmcnt(8)
	v_lshrrev_b32_e32 v17, 16, v12
	v_mul_f16_sdwa v18, v47, v12 dst_sel:DWORD dst_unused:UNUSED_PAD src0_sel:WORD_1 src1_sel:DWORD
	v_pack_b32_f16 v8, v8, v9
	v_fmac_f16_e32 v10, v48, v11
	s_waitcnt vmcnt(7)
	v_lshrrev_b32_e32 v9, 16, v13
	v_mul_f16_sdwa v11, v47, v17 dst_sel:DWORD dst_unused:UNUSED_PAD src0_sel:WORD_1 src1_sel:DWORD
	v_fma_f16 v17, v47, v17, -v18
	s_waitcnt vmcnt(6)
	v_mul_f16_sdwa v18, v46, v13 dst_sel:DWORD dst_unused:UNUSED_PAD src0_sel:WORD_1 src1_sel:DWORD
	v_pack_b32_f16 v10, v10, v16
	v_mul_f16_sdwa v16, v46, v9 dst_sel:DWORD dst_unused:UNUSED_PAD src0_sel:WORD_1 src1_sel:DWORD
	v_fmac_f16_e32 v11, v47, v12
	s_waitcnt vmcnt(4)
	v_lshrrev_b32_e32 v12, 16, v14
	v_fma_f16 v9, v46, v9, -v18
	v_mul_f16_sdwa v18, v45, v14 dst_sel:DWORD dst_unused:UNUSED_PAD src0_sel:WORD_1 src1_sel:DWORD
	v_fmac_f16_e32 v16, v46, v13
	s_waitcnt vmcnt(3)
	v_lshrrev_b32_e32 v13, 16, v15
	s_waitcnt vmcnt(2)
	v_lshrrev_b32_e32 v20, 16, v7
	v_mul_f16_sdwa v19, v45, v12 dst_sel:DWORD dst_unused:UNUSED_PAD src0_sel:WORD_1 src1_sel:DWORD
	v_fma_f16 v12, v45, v12, -v18
	s_waitcnt vmcnt(1)
	v_mul_f16_sdwa v18, v44, v15 dst_sel:DWORD dst_unused:UNUSED_PAD src0_sel:WORD_1 src1_sel:DWORD
	v_mul_f16_sdwa v21, v44, v13 dst_sel:DWORD dst_unused:UNUSED_PAD src0_sel:WORD_1 src1_sel:DWORD
	s_waitcnt vmcnt(0)
	v_mul_f16_sdwa v22, v43, v7 dst_sel:DWORD dst_unused:UNUSED_PAD src0_sel:WORD_1 src1_sel:DWORD
	v_mul_f16_sdwa v28, v43, v20 dst_sel:DWORD dst_unused:UNUSED_PAD src0_sel:WORD_1 src1_sel:DWORD
	v_fmac_f16_e32 v19, v45, v14
	v_fma_f16 v13, v44, v13, -v18
	v_fmac_f16_e32 v21, v44, v15
	v_fma_f16 v14, v43, v20, -v22
	v_fmac_f16_e32 v28, v43, v7
	v_pack_b32_f16 v7, v11, v17
	v_pack_b32_f16 v9, v16, v9
	;; [unrolled: 1-line block ×5, first 2 shown]
	ds_write_b32 v52, v0
	ds_write2_b32 v42, v8, v10 offset0:80 offset1:160
	ds_write2_b32 v3, v7, v9 offset0:112 offset1:192
	;; [unrolled: 1-line block ×3, first 2 shown]
	ds_write_b32 v42, v13 offset:2240
	s_and_saveexec_b32 s12, vcc_lo
	s_cbranch_execz .LBB0_3
; %bb.2:
	v_mad_u64_u32 v[0:1], null, 0xfffff840, s0, v[1:2]
	s_mulk_i32 s1, 0xf840
	s_sub_i32 s0, s1, s0
	v_add_nc_u32_e32 v1, s0, v1
	v_add_co_u32 v7, s0, v0, s6
	v_add_co_ci_u32_e64 v8, s0, s7, v1, s0
	global_load_dword v2, v[0:1], off
	global_load_dword v5, v[7:8], off
	v_add_co_u32 v0, s0, v7, s6
	v_add_co_ci_u32_e64 v1, s0, s7, v8, s0
	s_clause 0x4
	global_load_dword v9, v[25:26], off offset:256
	global_load_dword v10, v[25:26], off offset:576
	;; [unrolled: 1-line block ×5, first 2 shown]
	v_add_co_u32 v7, s0, v0, s6
	v_add_co_ci_u32_e64 v8, s0, s7, v1, s0
	global_load_dword v14, v[0:1], off
	v_add_co_u32 v0, s0, v7, s6
	v_add_co_ci_u32_e64 v1, s0, s7, v8, s0
	global_load_dword v15, v[7:8], off
	;; [unrolled: 3-line block ×4, first 2 shown]
	v_add_co_u32 v7, s0, v0, s6
	v_add_co_ci_u32_e64 v8, s0, s7, v1, s0
	global_load_dword v18, v[25:26], off offset:1856
	global_load_dword v0, v[0:1], off
	global_load_dword v1, v[7:8], off
	s_clause 0x1
	global_load_dword v7, v[23:24], off offset:128
	global_load_dword v8, v[23:24], off offset:448
	s_waitcnt vmcnt(15)
	v_lshrrev_b32_e32 v19, 16, v2
	s_waitcnt vmcnt(14)
	v_lshrrev_b32_e32 v22, 16, v5
	s_waitcnt vmcnt(13)
	v_mul_f16_sdwa v20, v9, v2 dst_sel:DWORD dst_unused:UNUSED_PAD src0_sel:WORD_1 src1_sel:DWORD
	v_mul_f16_sdwa v21, v9, v19 dst_sel:DWORD dst_unused:UNUSED_PAD src0_sel:WORD_1 src1_sel:DWORD
	v_fma_f16 v19, v9, v19, -v20
	s_waitcnt vmcnt(12)
	v_mul_f16_sdwa v20, v10, v5 dst_sel:DWORD dst_unused:UNUSED_PAD src0_sel:WORD_1 src1_sel:DWORD
	v_fmac_f16_e32 v21, v9, v2
	v_mul_f16_sdwa v2, v10, v22 dst_sel:DWORD dst_unused:UNUSED_PAD src0_sel:WORD_1 src1_sel:DWORD
	s_waitcnt vmcnt(8)
	v_lshrrev_b32_e32 v9, 16, v14
	v_mul_f16_sdwa v28, v11, v14 dst_sel:DWORD dst_unused:UNUSED_PAD src0_sel:WORD_1 src1_sel:DWORD
	v_fma_f16 v20, v10, v22, -v20
	v_pack_b32_f16 v19, v21, v19
	v_fmac_f16_e32 v2, v10, v5
	v_mul_f16_sdwa v5, v11, v9 dst_sel:DWORD dst_unused:UNUSED_PAD src0_sel:WORD_1 src1_sel:DWORD
	s_waitcnt vmcnt(7)
	v_lshrrev_b32_e32 v10, 16, v15
	v_fma_f16 v9, v11, v9, -v28
	v_mul_f16_sdwa v21, v12, v15 dst_sel:DWORD dst_unused:UNUSED_PAD src0_sel:WORD_1 src1_sel:DWORD
	v_pack_b32_f16 v2, v2, v20
	v_fmac_f16_e32 v5, v11, v14
	s_waitcnt vmcnt(6)
	v_lshrrev_b32_e32 v11, 16, v16
	v_mul_f16_sdwa v14, v12, v10 dst_sel:DWORD dst_unused:UNUSED_PAD src0_sel:WORD_1 src1_sel:DWORD
	v_mul_f16_sdwa v20, v13, v16 dst_sel:DWORD dst_unused:UNUSED_PAD src0_sel:WORD_1 src1_sel:DWORD
	v_fma_f16 v10, v12, v10, -v21
	v_pack_b32_f16 v5, v5, v9
	v_mul_f16_sdwa v9, v13, v11 dst_sel:DWORD dst_unused:UNUSED_PAD src0_sel:WORD_1 src1_sel:DWORD
	v_fmac_f16_e32 v14, v12, v15
	s_waitcnt vmcnt(5)
	v_lshrrev_b32_e32 v12, 16, v17
	v_fma_f16 v11, v13, v11, -v20
	s_waitcnt vmcnt(4)
	v_mul_f16_sdwa v15, v18, v17 dst_sel:DWORD dst_unused:UNUSED_PAD src0_sel:WORD_1 src1_sel:DWORD
	v_fmac_f16_e32 v9, v13, v16
	s_waitcnt vmcnt(3)
	v_lshrrev_b32_e32 v13, 16, v0
	s_waitcnt vmcnt(2)
	v_lshrrev_b32_e32 v20, 16, v1
	v_mul_f16_sdwa v16, v18, v12 dst_sel:DWORD dst_unused:UNUSED_PAD src0_sel:WORD_1 src1_sel:DWORD
	v_fma_f16 v12, v18, v12, -v15
	s_waitcnt vmcnt(1)
	v_mul_f16_sdwa v15, v7, v0 dst_sel:DWORD dst_unused:UNUSED_PAD src0_sel:WORD_1 src1_sel:DWORD
	v_mul_f16_sdwa v21, v7, v13 dst_sel:DWORD dst_unused:UNUSED_PAD src0_sel:WORD_1 src1_sel:DWORD
	s_waitcnt vmcnt(0)
	v_mul_f16_sdwa v22, v8, v1 dst_sel:DWORD dst_unused:UNUSED_PAD src0_sel:WORD_1 src1_sel:DWORD
	v_mul_f16_sdwa v28, v8, v20 dst_sel:DWORD dst_unused:UNUSED_PAD src0_sel:WORD_1 src1_sel:DWORD
	v_fmac_f16_e32 v16, v18, v17
	v_fma_f16 v13, v7, v13, -v15
	v_fmac_f16_e32 v21, v7, v0
	v_fma_f16 v0, v8, v20, -v22
	v_fmac_f16_e32 v28, v8, v1
	v_pack_b32_f16 v1, v14, v10
	v_pack_b32_f16 v7, v9, v11
	v_pack_b32_f16 v8, v16, v12
	v_pack_b32_f16 v9, v21, v13
	v_pack_b32_f16 v0, v28, v0
	v_add_nc_u32_e32 v10, 0x800, v42
	ds_write2_b32 v42, v19, v2 offset0:64 offset1:144
	ds_write2_b32 v3, v5, v1 offset0:96 offset1:176
	;; [unrolled: 1-line block ×4, first 2 shown]
.LBB0_3:
	s_or_b32 exec_lo, exec_lo, s12
	s_waitcnt lgkmcnt(0)
	s_barrier
	buffer_gl0_inv
	ds_read2_b32 v[0:1], v42 offset0:80 offset1:160
	ds_read2_b32 v[2:3], v3 offset0:112 offset1:192
	ds_read2_b32 v[13:14], v6 offset0:144 offset1:224
	ds_read_b32 v15, v52
	ds_read_b32 v16, v42 offset:2240
                                        ; implicit-def: $vgpr5
                                        ; implicit-def: $vgpr11
                                        ; implicit-def: $vgpr7
                                        ; implicit-def: $vgpr9
	s_and_saveexec_b32 s0, vcc_lo
	s_cbranch_execz .LBB0_5
; %bb.4:
	v_add_nc_u32_e32 v7, 0x200, v42
	v_add_nc_u32_e32 v9, 0x400, v42
	;; [unrolled: 1-line block ×3, first 2 shown]
	ds_read2_b32 v[5:6], v42 offset0:64 offset1:144
	ds_read2_b32 v[7:8], v7 offset0:96 offset1:176
	;; [unrolled: 1-line block ×4, first 2 shown]
.LBB0_5:
	s_or_b32 exec_lo, exec_lo, s0
	s_waitcnt lgkmcnt(1)
	v_pk_add_f16 v17, v15, v3 neg_lo:[0,1] neg_hi:[0,1]
	v_pk_add_f16 v13, v0, v13 neg_lo:[0,1] neg_hi:[0,1]
	;; [unrolled: 1-line block ×3, first 2 shown]
	s_waitcnt lgkmcnt(0)
	v_pk_add_f16 v18, v2, v16 neg_lo:[0,1] neg_hi:[0,1]
	v_pk_add_f16 v11, v5, v11 neg_lo:[0,1] neg_hi:[0,1]
	v_lshrrev_b32_e32 v3, 16, v17
	v_lshrrev_b32_e32 v16, 16, v13
	v_sub_f16_sdwa v19, v17, v14 dst_sel:DWORD dst_unused:UNUSED_PAD src0_sel:DWORD src1_sel:WORD_1
	v_sub_f16_sdwa v20, v13, v18 dst_sel:DWORD dst_unused:UNUSED_PAD src0_sel:DWORD src1_sel:WORD_1
	v_pk_add_f16 v9, v7, v9 neg_lo:[0,1] neg_hi:[0,1]
	v_add_f16_e32 v21, v3, v14
	v_add_f16_e32 v22, v16, v18
	v_fma_f16 v28, v17, 2.0, -v19
	v_fma_f16 v29, v13, 2.0, -v20
	v_pk_add_f16 v12, v6, v12 neg_lo:[0,1] neg_hi:[0,1]
	v_fma_f16 v3, v3, 2.0, -v21
	v_fma_f16 v16, v16, 2.0, -v22
	v_fmamk_f16 v34, v20, 0x39a8, v19
	v_fmamk_f16 v35, v29, 0xb9a8, v28
	v_sub_f16_sdwa v33, v11, v9 dst_sel:DWORD dst_unused:UNUSED_PAD src0_sel:DWORD src1_sel:WORD_1
	v_fmamk_f16 v37, v22, 0x39a8, v21
	v_fmamk_f16 v36, v16, 0xb9a8, v3
	v_pk_add_f16 v10, v8, v10 neg_lo:[0,1] neg_hi:[0,1]
	v_fmac_f16_e32 v35, 0xb9a8, v16
	v_lshrrev_b32_e32 v16, 16, v11
	v_fmac_f16_e32 v34, 0xb9a8, v22
	v_fmac_f16_e32 v36, 0x39a8, v29
	;; [unrolled: 1-line block ×3, first 2 shown]
	v_fma_f16 v20, v28, 2.0, -v35
	v_add_f16_e32 v28, v9, v16
	v_lshrrev_b32_e32 v29, 16, v12
	v_fma_f16 v22, v3, 2.0, -v36
	v_fma_f16 v3, v11, 2.0, -v33
	v_pk_fma_f16 v11, v5, 2.0, v11 op_sel_hi:[1,0,1] neg_lo:[0,0,1] neg_hi:[0,0,1]
	v_pk_fma_f16 v7, v7, 2.0, v9 op_sel_hi:[1,0,1] neg_lo:[0,0,1] neg_hi:[0,0,1]
	;; [unrolled: 1-line block ×4, first 2 shown]
	v_sub_f16_sdwa v8, v12, v10 dst_sel:DWORD dst_unused:UNUSED_PAD src0_sel:DWORD src1_sel:WORD_1
	v_add_f16_e32 v10, v10, v29
	v_pk_add_f16 v7, v11, v7 neg_lo:[0,1] neg_hi:[0,1]
	v_fma_f16 v5, v16, 2.0, -v28
	v_pk_add_f16 v31, v9, v6 neg_lo:[0,1] neg_hi:[0,1]
	v_fma_f16 v12, v12, 2.0, -v8
	v_fma_f16 v32, v29, 2.0, -v10
	v_pk_fma_f16 v6, v11, 2.0, v7 op_sel_hi:[1,0,1] neg_lo:[0,0,1] neg_hi:[0,0,1]
	v_lshrrev_b32_e32 v11, 16, v7
	v_sub_f16_sdwa v30, v7, v31 dst_sel:DWORD dst_unused:UNUSED_PAD src0_sel:DWORD src1_sel:WORD_1
	v_fmamk_f16 v29, v12, 0xb9a8, v3
	v_fmamk_f16 v58, v32, 0xb9a8, v5
	v_pk_fma_f16 v1, v1, 2.0, v14 op_sel_hi:[1,0,1] neg_lo:[0,0,1] neg_hi:[0,0,1]
	v_pk_fma_f16 v0, v0, 2.0, v13 op_sel_hi:[1,0,1] neg_lo:[0,0,1] neg_hi:[0,0,1]
	v_pk_fma_f16 v2, v2, 2.0, v18 op_sel_hi:[1,0,1] neg_lo:[0,0,1] neg_hi:[0,0,1]
	v_fmac_f16_e32 v29, 0xb9a8, v32
	v_fma_f16 v32, v7, 2.0, -v30
	v_pk_fma_f16 v7, v15, 2.0, v17 op_sel_hi:[1,0,1] neg_lo:[0,0,1] neg_hi:[0,0,1]
	v_fmamk_f16 v60, v10, 0x39a8, v28
	s_load_dwordx2 s[0:1], s[4:5], 0x8
	v_pk_fma_f16 v9, v9, 2.0, v31 op_sel_hi:[1,0,1] neg_lo:[0,0,1] neg_hi:[0,0,1]
	v_add_f16_e32 v59, v31, v11
	v_pk_add_f16 v1, v7, v1 neg_lo:[0,1] neg_hi:[0,1]
	v_fmamk_f16 v31, v8, 0x39a8, v33
	v_pk_add_f16 v2, v0, v2 neg_lo:[0,1] neg_hi:[0,1]
	v_fmac_f16_e32 v60, 0x39a8, v8
	v_pk_add_f16 v16, v6, v9 neg_lo:[0,1] neg_hi:[0,1]
	v_lshrrev_b32_e32 v8, 16, v1
	v_pk_fma_f16 v9, v7, 2.0, v1 op_sel_hi:[1,0,1] neg_lo:[0,0,1] neg_hi:[0,0,1]
	v_pk_fma_f16 v0, v0, 2.0, v2 op_sel_hi:[1,0,1] neg_lo:[0,0,1] neg_hi:[0,0,1]
	v_sub_f16_sdwa v15, v1, v2 dst_sel:DWORD dst_unused:UNUSED_PAD src0_sel:DWORD src1_sel:WORD_1
	v_fma_f16 v19, v19, 2.0, -v34
	v_add_f16_e32 v2, v8, v2
	v_fma_f16 v21, v21, 2.0, -v37
	v_fmac_f16_e32 v31, 0xb9a8, v10
	v_lshlrev_b32_e32 v10, 3, v49
	v_pk_add_f16 v7, v9, v0 neg_lo:[0,1] neg_hi:[0,1]
	v_fma_f16 v0, v1, 2.0, -v15
	v_fma_f16 v1, v8, 2.0, -v2
	v_fmac_f16_e32 v58, 0x39a8, v12
	v_fma_f16 v61, v11, 2.0, -v59
	v_fma_f16 v33, v33, 2.0, -v31
	;; [unrolled: 1-line block ×3, first 2 shown]
	v_add_lshl_u32 v56, v53, v10, 2
	v_pk_fma_f16 v11, v9, 2.0, v7 op_sel_hi:[1,0,1] neg_lo:[0,0,1] neg_hi:[0,0,1]
	v_pack_b32_f16 v14, v19, v21
	v_pack_b32_f16 v13, v0, v1
	;; [unrolled: 1-line block ×3, first 2 shown]
	v_lshlrev_b32_e32 v57, 3, v4
	v_pack_b32_f16 v10, v34, v37
	v_pack_b32_f16 v9, v15, v2
	;; [unrolled: 1-line block ×3, first 2 shown]
	s_waitcnt lgkmcnt(0)
	s_barrier
	buffer_gl0_inv
	ds_write_b128 v56, v[11:14]
	ds_write_b128 v56, v[7:10] offset:16
	s_and_saveexec_b32 s4, vcc_lo
	s_cbranch_execz .LBB0_7
; %bb.6:
	v_fma_f16 v1, v3, 2.0, -v29
	v_fma_f16 v2, v5, 2.0, -v58
	v_add_lshl_u32 v5, v53, v57, 2
	v_pk_fma_f16 v0, v6, 2.0, v16 op_sel_hi:[1,0,1] neg_lo:[0,0,1] neg_hi:[0,0,1]
	v_perm_b32 v3, v62, v33, 0x5040100
	v_perm_b32 v19, v60, v31, 0x5040100
	v_pack_b32_f16 v1, v1, v2
	v_perm_b32 v2, v61, v32, 0x5040100
	v_perm_b32 v18, v59, v30, 0x5040100
	;; [unrolled: 1-line block ×3, first 2 shown]
	ds_write_b128 v5, v[0:3]
	ds_write_b128 v5, v[16:19] offset:16
.LBB0_7:
	s_or_b32 exec_lo, exec_lo, s4
	v_and_b32_e32 v7, 7, v49
	s_waitcnt lgkmcnt(0)
	s_barrier
	buffer_gl0_inv
	v_lshrrev_b32_e32 v20, 3, v49
	v_mad_u64_u32 v[5:6], null, v7, 36, s[0:1]
	v_add_nc_u32_e32 v63, 0x200, v42
	v_add_nc_u32_e32 v64, 0x400, v42
	v_mul_u32_u24_e32 v20, 0x50, v20
	s_clause 0x2
	global_load_dwordx4 v[8:11], v[5:6], off
	global_load_dwordx4 v[0:3], v[5:6], off offset:16
	global_load_dword v55, v[5:6], off offset:32
	ds_read_b32 v19, v52
	ds_read2st64_b32 v[5:6], v42 offset0:1 offset1:2
	ds_read2st64_b32 v[12:13], v42 offset0:3 offset1:4
	;; [unrolled: 1-line block ×4, first 2 shown]
	ds_read_b32 v21, v42 offset:2304
	v_or_b32_e32 v7, v20, v7
	s_waitcnt vmcnt(0) lgkmcnt(0)
	s_barrier
	buffer_gl0_inv
	v_add_lshl_u32 v54, v53, v7, 2
	v_lshrrev_b32_e32 v7, 16, v19
	v_lshrrev_b32_e32 v20, 16, v5
	;; [unrolled: 1-line block ×10, first 2 shown]
	v_mul_f16_sdwa v40, v20, v8 dst_sel:DWORD dst_unused:UNUSED_PAD src0_sel:DWORD src1_sel:WORD_1
	v_mul_f16_sdwa v41, v5, v8 dst_sel:DWORD dst_unused:UNUSED_PAD src0_sel:DWORD src1_sel:WORD_1
	;; [unrolled: 1-line block ×18, first 2 shown]
	v_fma_f16 v5, v5, v8, -v40
	v_fmac_f16_e32 v41, v20, v8
	v_fma_f16 v6, v6, v9, -v65
	v_fmac_f16_e32 v66, v22, v9
	v_fma_f16 v12, v12, v10, -v67
	v_fmac_f16_e32 v68, v28, v10
	v_fma_f16 v13, v13, v11, -v69
	v_fmac_f16_e32 v70, v34, v11
	v_fma_f16 v14, v14, v0, -v71
	v_fmac_f16_e32 v72, v35, v0
	v_fma_f16 v15, v15, v1, -v73
	v_fmac_f16_e32 v74, v36, v1
	v_fma_f16 v17, v17, v2, -v75
	v_fmac_f16_e32 v76, v37, v2
	v_fma_f16 v18, v18, v3, -v77
	v_fmac_f16_e32 v78, v38, v3
	v_fma_f16 v20, v21, v55, -v79
	v_fmac_f16_e32 v80, v39, v55
	v_add_f16_e32 v21, v19, v6
	v_add_f16_e32 v22, v13, v15
	v_sub_f16_e32 v35, v6, v13
	v_sub_f16_e32 v36, v18, v15
	v_add_f16_e32 v37, v6, v18
	v_add_f16_e32 v40, v7, v66
	v_sub_f16_e32 v69, v66, v70
	v_sub_f16_e32 v71, v78, v74
	v_add_f16_e32 v77, v5, v12
	v_add_f16_e32 v79, v14, v17
	;; [unrolled: 1-line block ×6, first 2 shown]
	v_sub_f16_e32 v28, v66, v78
	v_sub_f16_e32 v34, v70, v74
	;; [unrolled: 1-line block ×4, first 2 shown]
	v_add_f16_e32 v65, v70, v74
	v_sub_f16_e32 v67, v13, v15
	v_add_f16_e32 v73, v66, v78
	v_sub_f16_e32 v66, v70, v66
	v_sub_f16_e32 v81, v68, v80
	;; [unrolled: 1-line block ×6, first 2 shown]
	v_add_f16_e32 v13, v21, v13
	v_add_f16_e32 v21, v35, v36
	v_fma_f16 v22, -0.5, v22, v19
	v_fmac_f16_e32 v19, -0.5, v37
	v_add_f16_e32 v36, v40, v70
	v_add_f16_e32 v37, v69, v71
	;; [unrolled: 1-line block ×3, first 2 shown]
	v_fma_f16 v40, -0.5, v79, v5
	v_add_f16_e32 v69, v88, v72
	v_fma_f16 v70, -0.5, v89, v41
	v_sub_f16_e32 v75, v74, v78
	v_sub_f16_e32 v82, v72, v76
	v_fmac_f16_e32 v5, -0.5, v85
	v_fmac_f16_e32 v41, -0.5, v93
	v_sub_f16_e32 v84, v20, v17
	v_sub_f16_e32 v87, v17, v20
	;; [unrolled: 1-line block ×5, first 2 shown]
	v_add_f16_e32 v35, v38, v39
	v_fma_f16 v38, -0.5, v65, v7
	v_fmac_f16_e32 v7, -0.5, v73
	v_add_f16_e32 v14, v14, v17
	v_fmamk_f16 v17, v81, 0x3b9c, v40
	v_add_f16_e32 v69, v69, v76
	v_fmamk_f16 v76, v12, 0xbb9c, v70
	v_sub_f16_e32 v6, v6, v18
	v_sub_f16_e32 v68, v72, v68
	v_add_f16_e32 v39, v66, v75
	v_fmamk_f16 v75, v82, 0xbb9c, v5
	v_fmac_f16_e32 v5, 0x3b9c, v82
	v_fmamk_f16 v77, v90, 0x3b9c, v41
	v_fmac_f16_e32 v41, 0xbb9c, v90
	v_fmac_f16_e32 v40, 0xbb9c, v81
	;; [unrolled: 1-line block ×3, first 2 shown]
	v_add_f16_e32 v65, v83, v84
	v_add_f16_e32 v71, v91, v92
	;; [unrolled: 1-line block ×4, first 2 shown]
	v_fmamk_f16 v74, v67, 0x3b9c, v7
	v_fmac_f16_e32 v7, 0xbb9c, v67
	v_fmac_f16_e32 v17, 0x38b4, v82
	;; [unrolled: 1-line block ×3, first 2 shown]
	v_add_f16_e32 v66, v86, v87
	v_add_f16_e32 v68, v68, v94
	v_fmamk_f16 v15, v28, 0x3b9c, v22
	v_fmac_f16_e32 v22, 0xbb9c, v28
	v_fmamk_f16 v73, v6, 0xbb9c, v38
	v_fmac_f16_e32 v38, 0x3b9c, v6
	v_fmac_f16_e32 v75, 0x38b4, v81
	;; [unrolled: 1-line block ×5, first 2 shown]
	v_fmamk_f16 v72, v34, 0xbb9c, v19
	v_fmac_f16_e32 v19, 0x3b9c, v34
	v_fmac_f16_e32 v40, 0xb8b4, v82
	;; [unrolled: 1-line block ×3, first 2 shown]
	v_add_f16_e32 v13, v13, v18
	v_add_f16_e32 v18, v36, v78
	v_fmac_f16_e32 v74, 0xb8b4, v6
	v_fmac_f16_e32 v7, 0x38b4, v6
	v_add_f16_e32 v6, v14, v20
	v_add_f16_e32 v14, v69, v80
	v_fmac_f16_e32 v17, 0x34f2, v65
	v_fmac_f16_e32 v76, 0x34f2, v71
	v_fmac_f16_e32 v15, 0x38b4, v34
	v_fmac_f16_e32 v22, 0xb8b4, v34
	v_fmac_f16_e32 v73, 0xb8b4, v67
	v_fmac_f16_e32 v38, 0x38b4, v67
	v_fmac_f16_e32 v75, 0x34f2, v66
	v_fmac_f16_e32 v5, 0x34f2, v66
	v_fmac_f16_e32 v77, 0x34f2, v68
	v_fmac_f16_e32 v41, 0x34f2, v68
	v_fmac_f16_e32 v72, 0x38b4, v28
	v_fmac_f16_e32 v19, 0xb8b4, v28
	v_fmac_f16_e32 v40, 0x34f2, v65
	v_fmac_f16_e32 v70, 0x34f2, v71
	v_add_f16_e32 v12, v13, v6
	v_add_f16_e32 v20, v18, v14
	v_sub_f16_e32 v6, v13, v6
	v_sub_f16_e32 v13, v18, v14
	v_mul_f16_e32 v14, 0x38b4, v76
	v_mul_f16_e32 v36, 0xb8b4, v17
	v_fmac_f16_e32 v15, 0x34f2, v21
	v_fmac_f16_e32 v22, 0x34f2, v21
	;; [unrolled: 1-line block ×4, first 2 shown]
	v_mul_f16_e32 v18, 0x3b9c, v77
	v_mul_f16_e32 v21, 0x34f2, v5
	;; [unrolled: 1-line block ×4, first 2 shown]
	v_fmac_f16_e32 v72, 0x34f2, v35
	v_fmac_f16_e32 v19, 0x34f2, v35
	v_mul_f16_e32 v28, 0x3a79, v40
	v_mul_f16_e32 v35, 0x3a79, v70
	v_fmac_f16_e32 v14, 0x3a79, v17
	v_fmac_f16_e32 v36, 0x3a79, v76
	;; [unrolled: 1-line block ×4, first 2 shown]
	v_pack_b32_f16 v6, v6, v13
	v_fmac_f16_e32 v18, 0x34f2, v75
	v_fma_f16 v13, v41, 0x3b9c, -v21
	v_fmac_f16_e32 v37, 0x34f2, v77
	v_fma_f16 v5, v5, 0xbb9c, -v34
	v_pack_b32_f16 v12, v12, v20
	v_fma_f16 v17, v70, 0x38b4, -v28
	v_fma_f16 v20, v40, 0xb8b4, -v35
	v_add_f16_e32 v21, v15, v14
	v_add_f16_e32 v41, v73, v36
	;; [unrolled: 1-line block ×8, first 2 shown]
	v_sub_f16_e32 v14, v15, v14
	v_sub_f16_e32 v15, v72, v18
	;; [unrolled: 1-line block ×8, first 2 shown]
	v_pack_b32_f16 v5, v21, v41
	v_pack_b32_f16 v7, v28, v67
	;; [unrolled: 1-line block ×8, first 2 shown]
	ds_write2_b32 v54, v12, v5 offset1:8
	ds_write2_b32 v54, v7, v18 offset0:16 offset1:24
	ds_write2_b32 v54, v19, v6 offset0:32 offset1:40
	;; [unrolled: 1-line block ×4, first 2 shown]
	s_waitcnt lgkmcnt(0)
	s_barrier
	buffer_gl0_inv
	ds_read2_b32 v[40:41], v42 offset0:80 offset1:160
	ds_read2_b32 v[38:39], v63 offset0:112 offset1:192
	;; [unrolled: 1-line block ×3, first 2 shown]
	ds_read_b32 v67, v52
	ds_read_b32 v68, v42 offset:2240
	s_and_saveexec_b32 s4, vcc_lo
	s_cbranch_execz .LBB0_9
; %bb.8:
	v_add_nc_u32_e32 v5, 0x800, v42
	ds_read2_b32 v[34:35], v42 offset0:64 offset1:144
	ds_read2_b32 v[32:33], v63 offset0:96 offset1:176
	;; [unrolled: 1-line block ×4, first 2 shown]
	s_waitcnt lgkmcnt(3)
	v_lshrrev_b32_e32 v65, 16, v34
	v_lshrrev_b32_e32 v66, 16, v35
	s_waitcnt lgkmcnt(2)
	v_lshrrev_b32_e32 v61, 16, v32
	v_lshrrev_b32_e32 v62, 16, v33
	s_waitcnt lgkmcnt(1)
	v_lshrrev_b32_e32 v58, 16, v29
	s_waitcnt lgkmcnt(0)
	v_lshrrev_b32_e32 v59, 16, v30
	v_lshrrev_b32_e32 v60, 16, v31
	v_mov_b32_e32 v16, v28
.LBB0_9:
	s_or_b32 exec_lo, exec_lo, s4
	v_mad_u64_u32 v[5:6], null, v49, 28, s[0:1]
	s_waitcnt lgkmcnt(4)
	v_lshrrev_b32_e32 v69, 16, v40
	v_lshrrev_b32_e32 v70, 16, v41
	s_waitcnt lgkmcnt(3)
	v_lshrrev_b32_e32 v71, 16, v38
	v_lshrrev_b32_e32 v72, 16, v39
	;; [unrolled: 3-line block ×3, first 2 shown]
	s_clause 0x1
	global_load_dwordx4 v[12:15], v[5:6], off offset:288
	global_load_dwordx3 v[20:22], v[5:6], off offset:304
	v_add_nc_u32_e32 v5, -16, v49
	s_waitcnt lgkmcnt(0)
	v_lshrrev_b32_e32 v75, 16, v68
	v_lshrrev_b32_e32 v28, 16, v67
	;; [unrolled: 1-line block ×3, first 2 shown]
	v_cndmask_b32_e32 v4, v5, v4, vcc_lo
	v_mul_i32_i24_e32 v5, 28, v4
	v_mul_hi_i32_i24_e32 v4, 28, v4
	v_add_co_u32 v17, s0, s0, v5
	v_add_co_ci_u32_e64 v18, s0, s1, v4, s0
	s_clause 0x1
	global_load_dwordx4 v[4:7], v[17:18], off offset:288
	global_load_dwordx3 v[17:19], v[17:18], off offset:304
	s_waitcnt vmcnt(3)
	v_mul_f16_sdwa v77, v69, v12 dst_sel:DWORD dst_unused:UNUSED_PAD src0_sel:DWORD src1_sel:WORD_1
	v_mul_f16_sdwa v78, v40, v12 dst_sel:DWORD dst_unused:UNUSED_PAD src0_sel:DWORD src1_sel:WORD_1
	;; [unrolled: 1-line block ×8, first 2 shown]
	s_waitcnt vmcnt(2)
	v_mul_f16_sdwa v85, v73, v20 dst_sel:DWORD dst_unused:UNUSED_PAD src0_sel:DWORD src1_sel:WORD_1
	v_mul_f16_sdwa v86, v36, v20 dst_sel:DWORD dst_unused:UNUSED_PAD src0_sel:DWORD src1_sel:WORD_1
	;; [unrolled: 1-line block ×6, first 2 shown]
	v_fma_f16 v40, v40, v12, -v77
	v_fmac_f16_e32 v78, v69, v12
	v_fma_f16 v41, v41, v13, -v79
	v_fmac_f16_e32 v80, v70, v13
	;; [unrolled: 2-line block ×7, first 2 shown]
	v_sub_f16_e32 v39, v67, v39
	v_sub_f16_e32 v69, v28, v84
	;; [unrolled: 1-line block ×8, first 2 shown]
	s_waitcnt vmcnt(1)
	v_mul_f16_sdwa v73, v66, v4 dst_sel:DWORD dst_unused:UNUSED_PAD src0_sel:DWORD src1_sel:WORD_1
	v_mul_f16_sdwa v74, v35, v4 dst_sel:DWORD dst_unused:UNUSED_PAD src0_sel:DWORD src1_sel:WORD_1
	;; [unrolled: 1-line block ×8, first 2 shown]
	s_waitcnt vmcnt(0)
	v_mul_f16_sdwa v85, v58, v17 dst_sel:DWORD dst_unused:UNUSED_PAD src0_sel:DWORD src1_sel:WORD_1
	v_mul_f16_sdwa v86, v29, v17 dst_sel:DWORD dst_unused:UNUSED_PAD src0_sel:DWORD src1_sel:WORD_1
	;; [unrolled: 1-line block ×6, first 2 shown]
	v_fma_f16 v67, v67, 2.0, -v39
	v_fma_f16 v28, v28, 2.0, -v69
	;; [unrolled: 1-line block ×8, first 2 shown]
	v_sub_f16_e32 v70, v39, v70
	v_add_f16_e32 v37, v69, v37
	v_sub_f16_e32 v72, v36, v72
	v_add_f16_e32 v68, v71, v68
	v_fma_f16 v35, v35, v4, -v73
	v_fmac_f16_e32 v74, v66, v4
	v_fma_f16 v32, v32, v5, -v75
	v_fmac_f16_e32 v77, v61, v5
	;; [unrolled: 2-line block ×7, first 2 shown]
	v_sub_f16_e32 v41, v67, v41
	v_sub_f16_e32 v58, v28, v80
	v_fma_f16 v39, v39, 2.0, -v70
	v_fma_f16 v59, v69, 2.0, -v37
	v_sub_f16_e32 v38, v40, v38
	v_sub_f16_e32 v60, v78, v82
	v_fma_f16 v36, v36, 2.0, -v72
	v_fma_f16 v61, v71, 2.0, -v68
	v_fmamk_f16 v62, v72, 0x39a8, v70
	v_fmamk_f16 v66, v68, 0x39a8, v37
	v_sub_f16_e32 v16, v34, v16
	v_sub_f16_e32 v69, v65, v84
	;; [unrolled: 1-line block ×8, first 2 shown]
	v_fma_f16 v67, v67, 2.0, -v41
	v_fma_f16 v28, v28, 2.0, -v58
	;; [unrolled: 1-line block ×4, first 2 shown]
	v_fmamk_f16 v78, v36, 0xb9a8, v39
	v_fmamk_f16 v79, v61, 0xb9a8, v59
	v_sub_f16_e32 v60, v41, v60
	v_add_f16_e32 v38, v58, v38
	v_fmac_f16_e32 v62, 0xb9a8, v68
	v_fmac_f16_e32 v66, 0x39a8, v72
	v_fma_f16 v34, v34, 2.0, -v16
	v_fma_f16 v65, v65, 2.0, -v69
	;; [unrolled: 1-line block ×8, first 2 shown]
	v_sub_f16_e32 v71, v16, v71
	v_add_f16_e32 v77, v69, v30
	v_sub_f16_e32 v30, v29, v75
	v_add_f16_e32 v31, v73, v31
	v_sub_f16_e32 v40, v67, v40
	v_sub_f16_e32 v75, v28, v76
	v_fmac_f16_e32 v78, 0xb9a8, v61
	v_fmac_f16_e32 v79, 0x39a8, v36
	v_fma_f16 v36, v41, 2.0, -v60
	v_fma_f16 v41, v58, 2.0, -v38
	v_fma_f16 v58, v70, 2.0, -v62
	v_fma_f16 v37, v37, 2.0, -v66
	v_pack_b32_f16 v38, v60, v38
	v_pack_b32_f16 v70, v62, v66
	v_sub_f16_e32 v32, v34, v32
	v_sub_f16_e32 v60, v65, v68
	v_fma_f16 v61, v16, 2.0, -v71
	v_fma_f16 v68, v69, 2.0, -v77
	v_sub_f16_e32 v33, v35, v33
	v_sub_f16_e32 v62, v72, v74
	v_fma_f16 v69, v29, 2.0, -v30
	v_fma_f16 v73, v73, 2.0, -v31
	v_fmamk_f16 v29, v30, 0x39a8, v71
	v_fmamk_f16 v16, v31, 0x39a8, v77
	v_fma_f16 v66, v67, 2.0, -v40
	v_fma_f16 v67, v28, 2.0, -v75
	v_pack_b32_f16 v37, v58, v37
	v_pack_b32_f16 v40, v40, v75
	v_fma_f16 v74, v34, 2.0, -v32
	v_fma_f16 v75, v65, 2.0, -v60
	;; [unrolled: 1-line block ×4, first 2 shown]
	v_fmamk_f16 v35, v69, 0xb9a8, v61
	v_fmamk_f16 v58, v73, 0xb9a8, v68
	v_fma_f16 v39, v39, 2.0, -v78
	v_fma_f16 v59, v59, 2.0, -v79
	v_sub_f16_e32 v28, v32, v62
	v_add_f16_e32 v65, v60, v33
	v_fmac_f16_e32 v29, 0xb9a8, v31
	v_fmac_f16_e32 v16, 0x39a8, v30
	v_pack_b32_f16 v67, v66, v67
	v_sub_f16_e32 v34, v74, v34
	v_sub_f16_e32 v66, v75, v72
	v_fmac_f16_e32 v35, 0xb9a8, v73
	v_fmac_f16_e32 v58, 0x39a8, v69
	v_pack_b32_f16 v39, v39, v59
	v_fma_f16 v30, v32, 2.0, -v28
	v_fma_f16 v60, v60, 2.0, -v65
	v_fma_f16 v31, v71, 2.0, -v29
	v_fma_f16 v59, v77, 2.0, -v16
	v_fma_f16 v32, v74, 2.0, -v34
	v_fma_f16 v62, v75, 2.0, -v66
	v_fma_f16 v33, v61, 2.0, -v35
	v_fma_f16 v61, v68, 2.0, -v58
	v_pack_b32_f16 v36, v36, v41
	v_pack_b32_f16 v41, v78, v79
	ds_write_b32 v52, v67
	ds_write2_b32 v42, v39, v36 offset0:80 offset1:160
	ds_write2_b32 v63, v37, v40 offset0:112 offset1:192
	;; [unrolled: 1-line block ×3, first 2 shown]
	ds_write_b32 v42, v70 offset:2240
	s_and_saveexec_b32 s0, vcc_lo
	s_cbranch_execz .LBB0_11
; %bb.10:
	v_perm_b32 v36, v62, v32, 0x5040100
	v_perm_b32 v37, v61, v33, 0x5040100
	;; [unrolled: 1-line block ×4, first 2 shown]
	v_add_nc_u32_e32 v40, 0x200, v42
	v_perm_b32 v41, v66, v34, 0x5040100
	v_perm_b32 v63, v58, v35, 0x5040100
	v_add_nc_u32_e32 v64, 0x400, v42
	v_perm_b32 v67, v65, v28, 0x5040100
	v_perm_b32 v68, v16, v29, 0x5040100
	v_add_nc_u32_e32 v69, 0x800, v42
	ds_write2_b32 v42, v36, v37 offset0:64 offset1:144
	ds_write2_b32 v40, v38, v39 offset0:96 offset1:176
	;; [unrolled: 1-line block ×4, first 2 shown]
.LBB0_11:
	s_or_b32 exec_lo, exec_lo, s0
	s_waitcnt lgkmcnt(0)
	s_barrier
	buffer_gl0_inv
	global_load_dword v40, v[23:24], off offset:512
	v_add_co_u32 v36, s0, 0xa00, v25
	v_add_co_ci_u32_e64 v37, s0, 0, v26, s0
	v_add_co_u32 v38, s0, 0x1000, v25
	v_add_co_ci_u32_e64 v39, s0, 0, v26, s0
	s_clause 0x6
	global_load_dword v41, v[36:37], off offset:320
	global_load_dword v71, v[36:37], off offset:640
	;; [unrolled: 1-line block ×7, first 2 shown]
	ds_read_b32 v38, v52
	s_waitcnt lgkmcnt(0)
	v_lshrrev_b32_e32 v63, 16, v38
	s_waitcnt vmcnt(7)
	v_mul_f16_sdwa v64, v63, v40 dst_sel:DWORD dst_unused:UNUSED_PAD src0_sel:DWORD src1_sel:WORD_1
	v_mul_f16_sdwa v67, v38, v40 dst_sel:DWORD dst_unused:UNUSED_PAD src0_sel:DWORD src1_sel:WORD_1
	v_fma_f16 v38, v38, v40, -v64
	v_fmac_f16_e32 v67, v63, v40
	v_pack_b32_f16 v40, v38, v67
	v_add_nc_u32_e32 v38, 0x200, v42
	ds_write_b32 v52, v40
	v_add_nc_u32_e32 v40, 0x400, v42
	ds_read2_b32 v[63:64], v42 offset0:80 offset1:160
	ds_read2_b32 v[67:68], v38 offset0:112 offset1:192
	;; [unrolled: 1-line block ×3, first 2 shown]
	ds_read_b32 v76, v42 offset:2240
	s_waitcnt lgkmcnt(3)
	v_lshrrev_b32_e32 v77, 16, v63
	s_waitcnt vmcnt(6)
	v_mul_f16_sdwa v78, v63, v41 dst_sel:DWORD dst_unused:UNUSED_PAD src0_sel:DWORD src1_sel:WORD_1
	v_lshrrev_b32_e32 v79, 16, v64
	s_waitcnt vmcnt(5)
	v_mul_f16_sdwa v80, v64, v71 dst_sel:DWORD dst_unused:UNUSED_PAD src0_sel:DWORD src1_sel:WORD_1
	s_waitcnt lgkmcnt(2)
	v_lshrrev_b32_e32 v81, 16, v67
	s_waitcnt vmcnt(4)
	v_mul_f16_sdwa v82, v67, v72 dst_sel:DWORD dst_unused:UNUSED_PAD src0_sel:DWORD src1_sel:WORD_1
	v_lshrrev_b32_e32 v83, 16, v68
	s_waitcnt vmcnt(3)
	v_mul_f16_sdwa v84, v68, v73 dst_sel:DWORD dst_unused:UNUSED_PAD src0_sel:DWORD src1_sel:WORD_1
	;; [unrolled: 7-line block ×3, first 2 shown]
	s_waitcnt lgkmcnt(0)
	v_lshrrev_b32_e32 v89, 16, v76
	v_mul_f16_sdwa v91, v77, v41 dst_sel:DWORD dst_unused:UNUSED_PAD src0_sel:DWORD src1_sel:WORD_1
	v_fmac_f16_e32 v78, v77, v41
	v_mul_f16_sdwa v77, v79, v71 dst_sel:DWORD dst_unused:UNUSED_PAD src0_sel:DWORD src1_sel:WORD_1
	v_fmac_f16_e32 v80, v79, v71
	;; [unrolled: 2-line block ×5, first 2 shown]
	v_mul_f16_sdwa v85, v87, v75 dst_sel:DWORD dst_unused:UNUSED_PAD src0_sel:DWORD src1_sel:WORD_1
	s_waitcnt vmcnt(0)
	v_mul_f16_sdwa v90, v76, v39 dst_sel:DWORD dst_unused:UNUSED_PAD src0_sel:DWORD src1_sel:WORD_1
	v_fmac_f16_e32 v88, v87, v75
	v_mul_f16_sdwa v87, v89, v39 dst_sel:DWORD dst_unused:UNUSED_PAD src0_sel:DWORD src1_sel:WORD_1
	v_fma_f16 v41, v63, v41, -v91
	v_fma_f16 v63, v64, v71, -v77
	v_fma_f16 v64, v67, v72, -v79
	v_fma_f16 v67, v68, v73, -v81
	v_fma_f16 v68, v69, v74, -v83
	v_fma_f16 v69, v70, v75, -v85
	v_fmac_f16_e32 v90, v89, v39
	v_fma_f16 v39, v76, v39, -v87
	v_pack_b32_f16 v41, v41, v78
	v_pack_b32_f16 v63, v63, v80
	;; [unrolled: 1-line block ×7, first 2 shown]
	ds_write2_b32 v42, v41, v63 offset0:80 offset1:160
	ds_write2_b32 v38, v64, v67 offset0:112 offset1:192
	;; [unrolled: 1-line block ×3, first 2 shown]
	ds_write_b32 v42, v39 offset:2240
	s_and_saveexec_b32 s1, vcc_lo
	s_cbranch_execz .LBB0_13
; %bb.12:
	s_clause 0x5
	global_load_dword v39, v[36:37], off offset:256
	global_load_dword v41, v[36:37], off offset:576
	;; [unrolled: 1-line block ×6, first 2 shown]
	v_add_co_u32 v36, s0, 0x800, v36
	v_add_co_ci_u32_e64 v37, s0, 0, v37, s0
	v_add_nc_u32_e32 v77, 0x800, v42
	s_clause 0x1
	global_load_dword v75, v[36:37], off offset:128
	global_load_dword v76, v[36:37], off offset:448
	ds_read2_b32 v[36:37], v42 offset0:64 offset1:144
	ds_read2_b32 v[63:64], v38 offset0:96 offset1:176
	;; [unrolled: 1-line block ×4, first 2 shown]
	s_waitcnt lgkmcnt(2)
	v_lshrrev_b32_e32 v80, 16, v63
	v_lshrrev_b32_e32 v78, 16, v36
	;; [unrolled: 1-line block ×4, first 2 shown]
	s_waitcnt lgkmcnt(1)
	v_lshrrev_b32_e32 v82, 16, v67
	v_lshrrev_b32_e32 v83, 16, v68
	s_waitcnt lgkmcnt(0)
	v_lshrrev_b32_e32 v84, 16, v69
	v_lshrrev_b32_e32 v85, 16, v70
	s_waitcnt vmcnt(7)
	v_mul_f16_sdwa v86, v78, v39 dst_sel:DWORD dst_unused:UNUSED_PAD src0_sel:DWORD src1_sel:WORD_1
	v_mul_f16_sdwa v87, v36, v39 dst_sel:DWORD dst_unused:UNUSED_PAD src0_sel:DWORD src1_sel:WORD_1
	s_waitcnt vmcnt(6)
	v_mul_f16_sdwa v88, v79, v41 dst_sel:DWORD dst_unused:UNUSED_PAD src0_sel:DWORD src1_sel:WORD_1
	v_mul_f16_sdwa v89, v37, v41 dst_sel:DWORD dst_unused:UNUSED_PAD src0_sel:DWORD src1_sel:WORD_1
	;; [unrolled: 3-line block ×4, first 2 shown]
	s_waitcnt vmcnt(3)
	v_mul_f16_sdwa v94, v82, v73 dst_sel:DWORD dst_unused:UNUSED_PAD src0_sel:DWORD src1_sel:WORD_1
	s_waitcnt vmcnt(2)
	v_mul_f16_sdwa v96, v83, v74 dst_sel:DWORD dst_unused:UNUSED_PAD src0_sel:DWORD src1_sel:WORD_1
	v_mul_f16_sdwa v95, v67, v73 dst_sel:DWORD dst_unused:UNUSED_PAD src0_sel:DWORD src1_sel:WORD_1
	;; [unrolled: 1-line block ×3, first 2 shown]
	v_fma_f16 v36, v36, v39, -v86
	v_fmac_f16_e32 v87, v78, v39
	v_fma_f16 v37, v37, v41, -v88
	v_fmac_f16_e32 v89, v79, v41
	;; [unrolled: 2-line block ×4, first 2 shown]
	v_fma_f16 v63, v67, v73, -v94
	v_fma_f16 v64, v68, v74, -v96
	s_waitcnt vmcnt(1)
	v_mul_f16_sdwa v67, v84, v75 dst_sel:DWORD dst_unused:UNUSED_PAD src0_sel:DWORD src1_sel:WORD_1
	v_mul_f16_sdwa v68, v69, v75 dst_sel:DWORD dst_unused:UNUSED_PAD src0_sel:DWORD src1_sel:WORD_1
	s_waitcnt vmcnt(0)
	v_mul_f16_sdwa v71, v85, v76 dst_sel:DWORD dst_unused:UNUSED_PAD src0_sel:DWORD src1_sel:WORD_1
	v_mul_f16_sdwa v72, v70, v76 dst_sel:DWORD dst_unused:UNUSED_PAD src0_sel:DWORD src1_sel:WORD_1
	v_fmac_f16_e32 v95, v82, v73
	v_fmac_f16_e32 v97, v83, v74
	v_fma_f16 v67, v69, v75, -v67
	v_fmac_f16_e32 v68, v84, v75
	v_fma_f16 v69, v70, v76, -v71
	v_fmac_f16_e32 v72, v85, v76
	v_pack_b32_f16 v36, v36, v87
	v_pack_b32_f16 v37, v37, v89
	v_pack_b32_f16 v39, v39, v91
	v_pack_b32_f16 v41, v41, v93
	v_pack_b32_f16 v63, v63, v95
	v_pack_b32_f16 v64, v64, v97
	v_pack_b32_f16 v67, v67, v68
	v_pack_b32_f16 v68, v69, v72
	ds_write2_b32 v42, v36, v37 offset0:64 offset1:144
	ds_write2_b32 v38, v39, v41 offset0:96 offset1:176
	;; [unrolled: 1-line block ×4, first 2 shown]
.LBB0_13:
	s_or_b32 exec_lo, exec_lo, s1
	s_waitcnt lgkmcnt(0)
	s_barrier
	buffer_gl0_inv
	ds_read2_b32 v[36:37], v42 offset0:80 offset1:160
	ds_read2_b32 v[38:39], v38 offset0:112 offset1:192
	;; [unrolled: 1-line block ×3, first 2 shown]
	ds_read_b32 v63, v52
	ds_read_b32 v64, v42 offset:2240
	s_and_saveexec_b32 s0, vcc_lo
	s_cbranch_execz .LBB0_15
; %bb.14:
	v_add_nc_u32_e32 v16, 0x200, v42
	v_add_nc_u32_e32 v28, 0x400, v42
	;; [unrolled: 1-line block ×3, first 2 shown]
	ds_read2_b32 v[32:33], v42 offset0:64 offset1:144
	ds_read2_b32 v[30:31], v16 offset0:96 offset1:176
	;; [unrolled: 1-line block ×4, first 2 shown]
	s_waitcnt lgkmcnt(3)
	v_lshrrev_b32_e32 v62, 16, v32
	v_lshrrev_b32_e32 v61, 16, v33
	s_waitcnt lgkmcnt(2)
	v_lshrrev_b32_e32 v60, 16, v30
	v_lshrrev_b32_e32 v59, 16, v31
	;; [unrolled: 3-line block ×4, first 2 shown]
.LBB0_15:
	s_or_b32 exec_lo, exec_lo, s0
	s_waitcnt lgkmcnt(1)
	v_pk_add_f16 v67, v63, v39 neg_lo:[0,1] neg_hi:[0,1]
	v_pk_add_f16 v68, v36, v40 neg_lo:[0,1] neg_hi:[0,1]
	;; [unrolled: 1-line block ×3, first 2 shown]
	s_waitcnt lgkmcnt(0)
	v_pk_add_f16 v64, v38, v64 neg_lo:[0,1] neg_hi:[0,1]
	v_sub_f16_e32 v34, v32, v34
	v_lshrrev_b32_e32 v39, 16, v67
	v_lshrrev_b32_e32 v40, 16, v68
	v_add_f16_sdwa v41, v67, v69 dst_sel:DWORD dst_unused:UNUSED_PAD src0_sel:DWORD src1_sel:WORD_1
	v_add_f16_sdwa v70, v68, v64 dst_sel:DWORD dst_unused:UNUSED_PAD src0_sel:DWORD src1_sel:WORD_1
	v_sub_f16_e32 v66, v62, v66
	v_sub_f16_e32 v71, v39, v69
	;; [unrolled: 1-line block ×3, first 2 shown]
	v_fma_f16 v73, v67, 2.0, -v41
	v_fma_f16 v74, v68, 2.0, -v70
	v_sub_f16_e32 v28, v30, v28
	v_fma_f16 v39, v39, 2.0, -v71
	v_fma_f16 v40, v40, 2.0, -v72
	v_sub_f16_e32 v65, v60, v65
	v_fmamk_f16 v76, v74, 0xb9a8, v73
	v_fmamk_f16 v75, v70, 0x39a8, v41
	v_sub_f16_e32 v35, v33, v35
	v_fmamk_f16 v77, v40, 0xb9a8, v39
	v_fma_f16 v32, v32, 2.0, -v34
	v_fmac_f16_e32 v76, 0x39a8, v40
	v_fma_f16 v40, v62, 2.0, -v66
	v_fma_f16 v30, v30, 2.0, -v28
	v_fmac_f16_e32 v77, 0xb9a8, v74
	v_sub_f16_e32 v62, v61, v58
	v_sub_f16_e32 v29, v31, v29
	;; [unrolled: 1-line block ×3, first 2 shown]
	v_fmamk_f16 v78, v72, 0x39a8, v71
	v_fmac_f16_e32 v75, 0x39a8, v72
	v_fma_f16 v72, v73, 2.0, -v76
	v_fma_f16 v73, v39, 2.0, -v77
	;; [unrolled: 1-line block ×5, first 2 shown]
	v_sub_f16_e32 v61, v32, v30
	v_fma_f16 v30, v31, 2.0, -v29
	v_fma_f16 v31, v59, 2.0, -v16
	v_sub_f16_e32 v74, v40, v39
	v_sub_f16_e32 v79, v66, v28
	v_fma_f16 v39, v32, 2.0, -v61
	v_sub_f16_e32 v32, v33, v30
	v_sub_f16_e32 v28, v60, v31
	v_add_f16_e32 v65, v65, v34
	v_fma_f16 v40, v40, 2.0, -v74
	v_add_f16_e32 v59, v16, v35
	v_fma_f16 v16, v33, 2.0, -v32
	v_fma_f16 v33, v60, 2.0, -v28
	v_fmac_f16_e32 v78, 0xb9a8, v70
	v_fma_f16 v70, v41, 2.0, -v75
	v_fma_f16 v41, v34, 2.0, -v65
	v_sub_f16_e32 v80, v62, v29
	v_fma_f16 v29, v35, 2.0, -v59
	v_sub_f16_e32 v30, v39, v16
	v_sub_f16_e32 v16, v40, v33
	v_pk_fma_f16 v33, v63, 2.0, v67 op_sel_hi:[1,0,1] neg_lo:[0,0,1] neg_hi:[0,0,1]
	v_pk_fma_f16 v37, v37, 2.0, v69 op_sel_hi:[1,0,1] neg_lo:[0,0,1] neg_hi:[0,0,1]
	v_fma_f16 v58, v66, 2.0, -v79
	v_fma_f16 v35, v62, 2.0, -v80
	v_fmamk_f16 v31, v29, 0xb9a8, v41
	v_add_f16_e32 v28, v28, v61
	v_pk_fma_f16 v62, v36, 2.0, v68 op_sel_hi:[1,0,1] neg_lo:[0,0,1] neg_hi:[0,0,1]
	v_pk_fma_f16 v38, v38, 2.0, v64 op_sel_hi:[1,0,1] neg_lo:[0,0,1] neg_hi:[0,0,1]
	v_pk_add_f16 v63, v33, v37 neg_lo:[0,1] neg_hi:[0,1]
	v_fmamk_f16 v34, v35, 0xb9a8, v58
	v_fmac_f16_e32 v31, 0x39a8, v35
	v_sub_f16_e32 v35, v74, v32
	v_fma_f16 v32, v61, 2.0, -v28
	v_pk_add_f16 v38, v62, v38 neg_lo:[0,1] neg_hi:[0,1]
	v_lshrrev_b32_e32 v61, 16, v63
	v_fmac_f16_e32 v34, 0xb9a8, v29
	v_fmamk_f16 v29, v59, 0x39a8, v65
	v_fmamk_f16 v37, v80, 0x39a8, v79
	v_pk_fma_f16 v64, v33, 2.0, v63 op_sel_hi:[1,0,1] neg_lo:[0,0,1] neg_hi:[0,0,1]
	v_pk_fma_f16 v33, v62, 2.0, v38 op_sel_hi:[1,0,1] neg_lo:[0,0,1] neg_hi:[0,0,1]
	v_add_f16_sdwa v67, v63, v38 dst_sel:DWORD dst_unused:UNUSED_PAD src0_sel:DWORD src1_sel:WORD_1
	v_sub_f16_e32 v68, v61, v38
	v_fma_f16 v60, v71, 2.0, -v78
	v_fmac_f16_e32 v29, 0x39a8, v80
	v_fmac_f16_e32 v37, 0xb9a8, v59
	v_pk_add_f16 v59, v64, v33 neg_lo:[0,1] neg_hi:[0,1]
	v_fma_f16 v62, v63, 2.0, -v67
	v_fma_f16 v61, v61, 2.0, -v68
	;; [unrolled: 1-line block ×5, first 2 shown]
	v_pk_fma_f16 v63, v64, 2.0, v59 op_sel_hi:[1,0,1] neg_lo:[0,0,1] neg_hi:[0,0,1]
	v_pack_b32_f16 v66, v70, v60
	v_pack_b32_f16 v65, v62, v61
	;; [unrolled: 1-line block ×6, first 2 shown]
	s_barrier
	buffer_gl0_inv
	ds_write_b128 v56, v[63:66]
	ds_write_b128 v56, v[59:62] offset:16
	s_and_saveexec_b32 s0, vcc_lo
	s_cbranch_execz .LBB0_17
; %bb.16:
	v_fma_f16 v41, v41, 2.0, -v31
	v_fma_f16 v56, v58, 2.0, -v34
	;; [unrolled: 1-line block ×4, first 2 shown]
	v_add_lshl_u32 v53, v53, v57, 2
	v_perm_b32 v59, v38, v33, 0x5040100
	v_pack_b32_f16 v57, v41, v56
	v_perm_b32 v58, v36, v32, 0x5040100
	v_pack_b32_f16 v56, v39, v40
	v_perm_b32 v63, v37, v29, 0x5040100
	v_perm_b32 v62, v35, v28, 0x5040100
	v_perm_b32 v61, v34, v31, 0x5040100
	v_perm_b32 v60, v16, v30, 0x5040100
	ds_write_b128 v53, v[56:59]
	ds_write_b128 v53, v[60:63] offset:16
.LBB0_17:
	s_or_b32 exec_lo, exec_lo, s0
	s_waitcnt lgkmcnt(0)
	s_barrier
	buffer_gl0_inv
	ds_read_b32 v41, v52
	ds_read2st64_b32 v[39:40], v42 offset0:1 offset1:2
	ds_read2st64_b32 v[56:57], v42 offset0:3 offset1:4
	;; [unrolled: 1-line block ×4, first 2 shown]
	ds_read_b32 v53, v42 offset:2304
	s_waitcnt lgkmcnt(0)
	s_barrier
	buffer_gl0_inv
	v_lshrrev_b32_e32 v62, 16, v41
	v_lshrrev_b32_e32 v63, 16, v39
	;; [unrolled: 1-line block ×5, first 2 shown]
	v_mul_f16_sdwa v72, v8, v39 dst_sel:DWORD dst_unused:UNUSED_PAD src0_sel:WORD_1 src1_sel:DWORD
	v_mul_f16_sdwa v73, v9, v40 dst_sel:DWORD dst_unused:UNUSED_PAD src0_sel:WORD_1 src1_sel:DWORD
	v_lshrrev_b32_e32 v67, 16, v58
	v_lshrrev_b32_e32 v68, 16, v59
	v_mul_f16_sdwa v74, v10, v56 dst_sel:DWORD dst_unused:UNUSED_PAD src0_sel:WORD_1 src1_sel:DWORD
	v_mul_f16_sdwa v75, v11, v57 dst_sel:DWORD dst_unused:UNUSED_PAD src0_sel:WORD_1 src1_sel:DWORD
	v_mul_f16_sdwa v76, v8, v63 dst_sel:DWORD dst_unused:UNUSED_PAD src0_sel:WORD_1 src1_sel:DWORD
	v_fma_f16 v63, v8, v63, -v72
	v_mul_f16_sdwa v72, v9, v64 dst_sel:DWORD dst_unused:UNUSED_PAD src0_sel:WORD_1 src1_sel:DWORD
	v_mul_f16_sdwa v77, v10, v65 dst_sel:DWORD dst_unused:UNUSED_PAD src0_sel:WORD_1 src1_sel:DWORD
	v_fma_f16 v64, v9, v64, -v73
	v_mul_f16_sdwa v73, v11, v66 dst_sel:DWORD dst_unused:UNUSED_PAD src0_sel:WORD_1 src1_sel:DWORD
	v_lshrrev_b32_e32 v70, 16, v61
	v_fmac_f16_e32 v76, v8, v39
	v_fmac_f16_e32 v72, v9, v40
	;; [unrolled: 1-line block ×3, first 2 shown]
	v_fma_f16 v8, v10, v65, -v74
	v_mul_f16_sdwa v9, v0, v67 dst_sel:DWORD dst_unused:UNUSED_PAD src0_sel:WORD_1 src1_sel:DWORD
	v_fmac_f16_e32 v73, v11, v57
	v_fma_f16 v10, v11, v66, -v75
	v_mul_f16_sdwa v11, v0, v58 dst_sel:DWORD dst_unused:UNUSED_PAD src0_sel:WORD_1 src1_sel:DWORD
	v_mul_f16_sdwa v39, v1, v68 dst_sel:DWORD dst_unused:UNUSED_PAD src0_sel:WORD_1 src1_sel:DWORD
	v_lshrrev_b32_e32 v69, 16, v60
	v_fmac_f16_e32 v9, v0, v58
	v_mul_f16_sdwa v58, v3, v70 dst_sel:DWORD dst_unused:UNUSED_PAD src0_sel:WORD_1 src1_sel:DWORD
	v_fma_f16 v0, v0, v67, -v11
	v_fmac_f16_e32 v39, v1, v59
	v_mul_f16_sdwa v11, v3, v61 dst_sel:DWORD dst_unused:UNUSED_PAD src0_sel:WORD_1 src1_sel:DWORD
	v_lshrrev_b32_e32 v71, 16, v53
	v_mul_f16_sdwa v40, v1, v59 dst_sel:DWORD dst_unused:UNUSED_PAD src0_sel:WORD_1 src1_sel:DWORD
	v_mul_f16_sdwa v56, v2, v69 dst_sel:DWORD dst_unused:UNUSED_PAD src0_sel:WORD_1 src1_sel:DWORD
	v_add_f16_e32 v57, v73, v39
	v_fma_f16 v11, v3, v70, -v11
	v_fmac_f16_e32 v58, v3, v61
	v_fma_f16 v1, v1, v68, -v40
	v_fmac_f16_e32 v56, v2, v60
	v_mul_f16_sdwa v40, v2, v60 dst_sel:DWORD dst_unused:UNUSED_PAD src0_sel:WORD_1 src1_sel:DWORD
	v_mul_f16_sdwa v59, v55, v71 dst_sel:DWORD dst_unused:UNUSED_PAD src0_sel:WORD_1 src1_sel:DWORD
	v_add_f16_e32 v60, v41, v72
	v_fma_f16 v57, -0.5, v57, v41
	v_sub_f16_e32 v65, v64, v11
	v_add_f16_e32 v67, v72, v58
	v_fma_f16 v2, v2, v69, -v40
	v_fmac_f16_e32 v59, v55, v53
	v_add_f16_e32 v3, v60, v73
	v_fmamk_f16 v40, v65, 0xbb9c, v57
	v_sub_f16_e32 v60, v10, v1
	v_mul_f16_sdwa v53, v55, v53 dst_sel:DWORD dst_unused:UNUSED_PAD src0_sel:WORD_1 src1_sel:DWORD
	v_fmac_f16_e32 v41, -0.5, v67
	v_fmac_f16_e32 v57, 0x3b9c, v65
	v_add_f16_e32 v68, v62, v64
	v_sub_f16_e32 v61, v72, v73
	v_sub_f16_e32 v66, v58, v39
	v_fmac_f16_e32 v40, 0xb8b4, v60
	v_fma_f16 v53, v55, v71, -v53
	v_fmamk_f16 v55, v60, 0x3b9c, v41
	v_fmac_f16_e32 v57, 0x38b4, v60
	v_fmac_f16_e32 v41, 0xbb9c, v60
	v_add_f16_e32 v60, v68, v10
	v_add_f16_e32 v3, v3, v39
	v_add_f16_e32 v61, v61, v66
	v_sub_f16_e32 v66, v73, v72
	v_sub_f16_e32 v67, v39, v58
	v_add_f16_e32 v69, v10, v1
	v_fmac_f16_e32 v55, 0xb8b4, v65
	v_fmac_f16_e32 v41, 0x38b4, v65
	v_add_f16_e32 v60, v60, v1
	v_add_f16_e32 v65, v64, v11
	;; [unrolled: 1-line block ×4, first 2 shown]
	v_fma_f16 v67, -0.5, v69, v62
	v_sub_f16_e32 v58, v72, v58
	v_sub_f16_e32 v39, v73, v39
	;; [unrolled: 1-line block ×4, first 2 shown]
	v_fmac_f16_e32 v62, -0.5, v65
	v_add_f16_e32 v60, v60, v11
	v_sub_f16_e32 v10, v10, v64
	v_sub_f16_e32 v1, v1, v11
	v_add_f16_e32 v11, v76, v77
	v_fmac_f16_e32 v40, 0x34f2, v61
	v_fmac_f16_e32 v57, 0x34f2, v61
	v_fmac_f16_e32 v55, 0x34f2, v66
	v_fmamk_f16 v61, v58, 0x3b9c, v67
	v_fmac_f16_e32 v41, 0x34f2, v66
	v_fmac_f16_e32 v67, 0xbb9c, v58
	v_fmamk_f16 v66, v39, 0xbb9c, v62
	v_add_f16_e32 v1, v10, v1
	v_fmac_f16_e32 v62, 0x3b9c, v39
	v_add_f16_e32 v10, v11, v9
	v_add_f16_e32 v11, v9, v56
	v_fmac_f16_e32 v61, 0x38b4, v39
	v_fmac_f16_e32 v67, 0xb8b4, v39
	;; [unrolled: 1-line block ×4, first 2 shown]
	v_add_f16_e32 v10, v10, v56
	v_add_f16_e32 v39, v77, v59
	v_fma_f16 v11, -0.5, v11, v76
	v_sub_f16_e32 v58, v8, v53
	v_add_f16_e32 v65, v68, v69
	v_fmac_f16_e32 v66, 0x34f2, v1
	v_fmac_f16_e32 v62, 0x34f2, v1
	v_add_f16_e32 v1, v10, v59
	v_sub_f16_e32 v10, v0, v2
	v_fmac_f16_e32 v76, -0.5, v39
	v_fmamk_f16 v39, v58, 0xbb9c, v11
	v_fmac_f16_e32 v11, 0x3b9c, v58
	v_fmac_f16_e32 v61, 0x34f2, v65
	;; [unrolled: 1-line block ×3, first 2 shown]
	v_sub_f16_e32 v64, v77, v9
	v_sub_f16_e32 v65, v59, v56
	v_fmamk_f16 v68, v10, 0x3b9c, v76
	v_fmac_f16_e32 v76, 0xbb9c, v10
	v_sub_f16_e32 v69, v9, v77
	v_sub_f16_e32 v70, v56, v59
	v_fmac_f16_e32 v39, 0xb8b4, v10
	v_fmac_f16_e32 v11, 0x38b4, v10
	v_add_f16_e32 v10, v0, v2
	v_add_f16_e32 v64, v64, v65
	v_fmac_f16_e32 v68, 0xb8b4, v58
	v_fmac_f16_e32 v76, 0x38b4, v58
	v_add_f16_e32 v58, v8, v53
	v_add_f16_e32 v65, v69, v70
	v_fma_f16 v10, -0.5, v10, v63
	v_sub_f16_e32 v59, v77, v59
	v_fmac_f16_e32 v39, 0x34f2, v64
	v_fmac_f16_e32 v11, 0x34f2, v64
	v_add_f16_e32 v64, v63, v8
	v_sub_f16_e32 v9, v9, v56
	v_fmac_f16_e32 v63, -0.5, v58
	v_fmac_f16_e32 v68, 0x34f2, v65
	v_fmac_f16_e32 v76, 0x34f2, v65
	v_fmamk_f16 v56, v59, 0x3b9c, v10
	v_sub_f16_e32 v58, v8, v0
	v_sub_f16_e32 v65, v53, v2
	v_fmamk_f16 v69, v9, 0xbb9c, v63
	v_sub_f16_e32 v8, v0, v8
	v_sub_f16_e32 v70, v2, v53
	v_fmac_f16_e32 v63, 0x3b9c, v9
	v_fmac_f16_e32 v10, 0xbb9c, v59
	;; [unrolled: 1-line block ×3, first 2 shown]
	v_add_f16_e32 v58, v58, v65
	v_fmac_f16_e32 v69, 0x38b4, v59
	v_add_f16_e32 v8, v8, v70
	v_fmac_f16_e32 v63, 0xb8b4, v59
	v_fmac_f16_e32 v10, 0xb8b4, v9
	v_add_f16_e32 v0, v64, v0
	v_fmac_f16_e32 v56, 0x34f2, v58
	v_fmac_f16_e32 v69, 0x34f2, v8
	;; [unrolled: 1-line block ×4, first 2 shown]
	v_add_f16_e32 v0, v0, v2
	v_mul_f16_e32 v2, 0xb8b4, v56
	v_mul_f16_e32 v56, 0x3a79, v56
	;; [unrolled: 1-line block ×8, first 2 shown]
	v_add_f16_e32 v53, v0, v53
	v_fmac_f16_e32 v2, 0x3a79, v39
	v_fmac_f16_e32 v56, 0x38b4, v39
	;; [unrolled: 1-line block ×8, first 2 shown]
	v_add_f16_e32 v59, v3, v1
	v_add_f16_e32 v64, v40, v2
	;; [unrolled: 1-line block ×10, first 2 shown]
	v_sub_f16_e32 v3, v3, v1
	v_sub_f16_e32 v0, v41, v9
	;; [unrolled: 1-line block ×10, first 2 shown]
	v_pack_b32_f16 v10, v59, v11
	v_pack_b32_f16 v11, v64, v68
	;; [unrolled: 1-line block ×10, first 2 shown]
	ds_write2_b32 v54, v10, v11 offset1:8
	ds_write2_b32 v54, v55, v56 offset0:16 offset1:24
	ds_write2_b32 v54, v57, v3 offset0:32 offset1:40
	;; [unrolled: 1-line block ×4, first 2 shown]
	v_add_nc_u32_e32 v41, 0x200, v42
	v_add_nc_u32_e32 v53, 0x400, v42
	s_waitcnt lgkmcnt(0)
	s_barrier
	buffer_gl0_inv
	ds_read2_b32 v[10:11], v42 offset0:80 offset1:160
	ds_read2_b32 v[8:9], v41 offset0:112 offset1:192
	;; [unrolled: 1-line block ×3, first 2 shown]
	ds_read_b32 v54, v52
	ds_read_b32 v55, v42 offset:2240
	s_and_saveexec_b32 s0, vcc_lo
	s_cbranch_execz .LBB0_19
; %bb.18:
	v_add_nc_u32_e32 v16, 0x800, v42
	ds_read2_b32 v[0:1], v42 offset0:64 offset1:144
	ds_read2_b32 v[32:33], v41 offset0:96 offset1:176
	ds_read2_b32 v[30:31], v53 offset0:128 offset1:208
	ds_read2_b32 v[28:29], v16 offset0:32 offset1:112
	s_waitcnt lgkmcnt(3)
	v_lshrrev_b32_e32 v39, 16, v0
	v_lshrrev_b32_e32 v40, 16, v1
	s_waitcnt lgkmcnt(2)
	v_lshrrev_b32_e32 v36, 16, v32
	v_lshrrev_b32_e32 v38, 16, v33
	;; [unrolled: 3-line block ×4, first 2 shown]
.LBB0_19:
	s_or_b32 exec_lo, exec_lo, s0
	s_waitcnt lgkmcnt(4)
	v_lshrrev_b32_e32 v57, 16, v10
	v_lshrrev_b32_e32 v58, 16, v11
	s_waitcnt lgkmcnt(3)
	v_lshrrev_b32_e32 v59, 16, v8
	v_lshrrev_b32_e32 v60, 16, v9
	s_waitcnt lgkmcnt(2)
	v_lshrrev_b32_e32 v61, 16, v2
	v_mul_f16_sdwa v63, v12, v57 dst_sel:DWORD dst_unused:UNUSED_PAD src0_sel:WORD_1 src1_sel:DWORD
	v_mul_f16_sdwa v65, v12, v10 dst_sel:DWORD dst_unused:UNUSED_PAD src0_sel:WORD_1 src1_sel:DWORD
	;; [unrolled: 1-line block ×4, first 2 shown]
	v_lshrrev_b32_e32 v62, 16, v3
	v_fmac_f16_e32 v63, v12, v10
	v_mul_f16_sdwa v10, v14, v59 dst_sel:DWORD dst_unused:UNUSED_PAD src0_sel:WORD_1 src1_sel:DWORD
	v_fma_f16 v12, v12, v57, -v65
	v_fmac_f16_e32 v66, v13, v11
	v_fma_f16 v11, v13, v58, -v67
	v_mul_f16_sdwa v13, v14, v8 dst_sel:DWORD dst_unused:UNUSED_PAD src0_sel:WORD_1 src1_sel:DWORD
	v_fmac_f16_e32 v10, v14, v8
	v_mul_f16_sdwa v8, v15, v60 dst_sel:DWORD dst_unused:UNUSED_PAD src0_sel:WORD_1 src1_sel:DWORD
	v_mul_f16_sdwa v57, v15, v9 dst_sel:DWORD dst_unused:UNUSED_PAD src0_sel:WORD_1 src1_sel:DWORD
	;; [unrolled: 1-line block ×3, first 2 shown]
	s_waitcnt lgkmcnt(0)
	v_lshrrev_b32_e32 v64, 16, v55
	v_fma_f16 v13, v14, v59, -v13
	v_mul_f16_sdwa v14, v20, v2 dst_sel:DWORD dst_unused:UNUSED_PAD src0_sel:WORD_1 src1_sel:DWORD
	v_fmac_f16_e32 v8, v15, v9
	v_fma_f16 v9, v15, v60, -v57
	v_fmac_f16_e32 v58, v20, v2
	v_mul_f16_sdwa v2, v21, v62 dst_sel:DWORD dst_unused:UNUSED_PAD src0_sel:WORD_1 src1_sel:DWORD
	v_mul_f16_sdwa v15, v21, v3 dst_sel:DWORD dst_unused:UNUSED_PAD src0_sel:WORD_1 src1_sel:DWORD
	;; [unrolled: 1-line block ×3, first 2 shown]
	v_lshrrev_b32_e32 v56, 16, v54
	v_fma_f16 v14, v20, v61, -v14
	v_mul_f16_sdwa v20, v22, v64 dst_sel:DWORD dst_unused:UNUSED_PAD src0_sel:WORD_1 src1_sel:DWORD
	v_fmac_f16_e32 v2, v21, v3
	v_sub_f16_e32 v3, v54, v8
	v_fma_f16 v8, v21, v62, -v15
	v_fma_f16 v15, v22, v64, -v57
	v_fmac_f16_e32 v20, v22, v55
	v_sub_f16_e32 v9, v56, v9
	v_sub_f16_e32 v14, v12, v14
	;; [unrolled: 1-line block ×4, first 2 shown]
	v_fma_f16 v21, v54, 2.0, -v3
	v_sub_f16_e32 v2, v66, v2
	v_sub_f16_e32 v22, v63, v58
	v_fma_f16 v54, v56, 2.0, -v9
	v_fma_f16 v11, v11, 2.0, -v8
	v_sub_f16_e32 v20, v10, v20
	v_fma_f16 v12, v12, 2.0, -v14
	v_fma_f16 v13, v13, 2.0, -v15
	;; [unrolled: 1-line block ×3, first 2 shown]
	v_sub_f16_e32 v11, v54, v11
	v_fma_f16 v10, v10, 2.0, -v20
	v_add_f16_e32 v8, v3, v8
	v_sub_f16_e32 v2, v9, v2
	v_add_f16_e32 v15, v22, v15
	v_sub_f16_e32 v13, v12, v13
	v_sub_f16_e32 v20, v14, v20
	v_fma_f16 v56, v63, 2.0, -v22
	v_fma_f16 v54, v54, 2.0, -v11
	;; [unrolled: 1-line block ×7, first 2 shown]
	v_sub_f16_e32 v55, v21, v55
	v_sub_f16_e32 v10, v56, v10
	v_fmamk_f16 v57, v22, 0xb9a8, v3
	v_sub_f16_e32 v12, v54, v12
	v_fmamk_f16 v58, v14, 0xb9a8, v9
	v_fma_f16 v21, v21, 2.0, -v55
	v_fma_f16 v56, v56, 2.0, -v10
	v_fmac_f16_e32 v57, 0x39a8, v14
	v_fma_f16 v14, v54, 2.0, -v12
	v_fmac_f16_e32 v58, 0xb9a8, v22
	v_fmamk_f16 v22, v15, 0x39a8, v8
	v_fmamk_f16 v54, v20, 0x39a8, v2
	v_sub_f16_e32 v56, v21, v56
	v_add_f16_e32 v13, v55, v13
	v_sub_f16_e32 v10, v11, v10
	v_fmac_f16_e32 v22, 0x39a8, v20
	v_fmac_f16_e32 v54, 0xb9a8, v15
	v_fma_f16 v21, v21, 2.0, -v56
	v_fma_f16 v3, v3, 2.0, -v57
	;; [unrolled: 1-line block ×7, first 2 shown]
	v_pack_b32_f16 v14, v21, v14
	v_pack_b32_f16 v3, v3, v9
	v_pack_b32_f16 v9, v15, v11
	v_pack_b32_f16 v11, v57, v58
	v_pack_b32_f16 v2, v8, v2
	v_pack_b32_f16 v8, v56, v12
	v_pack_b32_f16 v10, v13, v10
	v_pack_b32_f16 v12, v22, v54
	ds_write_b32 v52, v14
	ds_write2_b32 v42, v3, v9 offset0:80 offset1:160
	ds_write2_b32 v41, v2, v8 offset0:112 offset1:192
	;; [unrolled: 1-line block ×3, first 2 shown]
	ds_write_b32 v42, v12 offset:2240
	s_and_saveexec_b32 s0, vcc_lo
	s_cbranch_execz .LBB0_21
; %bb.20:
	v_mul_f16_sdwa v9, v4, v1 dst_sel:DWORD dst_unused:UNUSED_PAD src0_sel:WORD_1 src1_sel:DWORD
	v_mul_f16_sdwa v11, v6, v38 dst_sel:DWORD dst_unused:UNUSED_PAD src0_sel:WORD_1 src1_sel:DWORD
	;; [unrolled: 1-line block ×10, first 2 shown]
	v_fma_f16 v9, v4, v40, -v9
	v_fmac_f16_e32 v11, v6, v33
	v_mul_f16_sdwa v21, v17, v34 dst_sel:DWORD dst_unused:UNUSED_PAD src0_sel:WORD_1 src1_sel:DWORD
	v_fma_f16 v6, v6, v38, -v14
	v_fma_f16 v14, v19, v37, -v15
	v_fmac_f16_e32 v20, v4, v1
	v_mul_f16_sdwa v1, v7, v30 dst_sel:DWORD dst_unused:UNUSED_PAD src0_sel:WORD_1 src1_sel:DWORD
	v_mul_f16_sdwa v4, v5, v36 dst_sel:DWORD dst_unused:UNUSED_PAD src0_sel:WORD_1 src1_sel:DWORD
	;; [unrolled: 1-line block ×3, first 2 shown]
	v_fma_f16 v2, v5, v36, -v2
	v_fma_f16 v3, v18, v35, -v3
	v_fmac_f16_e32 v8, v7, v30
	v_fma_f16 v10, v17, v34, -v10
	v_fmac_f16_e32 v12, v19, v29
	v_fmac_f16_e32 v21, v17, v31
	v_fma_f16 v1, v7, v16, -v1
	v_fmac_f16_e32 v4, v5, v32
	v_fmac_f16_e32 v15, v18, v28
	v_sub_f16_e32 v3, v2, v3
	v_sub_f16_e32 v8, v0, v8
	;; [unrolled: 1-line block ×8, first 2 shown]
	v_add_f16_e32 v13, v3, v8
	v_add_f16_e32 v10, v14, v17
	v_sub_f16_e32 v15, v5, v7
	v_fma_f16 v0, v0, 2.0, -v8
	v_sub_f16_e32 v18, v1, v12
	v_fma_f16 v4, v4, 2.0, -v12
	v_fmamk_f16 v16, v10, 0x39a8, v13
	v_fma_f16 v9, v9, 2.0, -v5
	v_fma_f16 v6, v6, 2.0, -v14
	v_fmamk_f16 v19, v15, 0x39a8, v18
	v_fma_f16 v14, v39, 2.0, -v1
	v_fma_f16 v2, v2, 2.0, -v3
	v_fma_f16 v3, v20, 2.0, -v17
	v_fma_f16 v7, v11, 2.0, -v7
	v_fmac_f16_e32 v16, 0x39a8, v15
	v_fmac_f16_e32 v19, 0xb9a8, v10
	v_sub_f16_e32 v4, v0, v4
	v_sub_f16_e32 v6, v9, v6
	v_fma_f16 v8, v8, 2.0, -v13
	v_fma_f16 v10, v17, 2.0, -v10
	v_sub_f16_e32 v2, v14, v2
	v_sub_f16_e32 v7, v3, v7
	v_fma_f16 v5, v5, 2.0, -v15
	v_fma_f16 v1, v1, 2.0, -v18
	;; [unrolled: 1-line block ×3, first 2 shown]
	v_add_f16_e32 v11, v4, v6
	v_fmamk_f16 v13, v10, 0xb9a8, v8
	v_fma_f16 v0, v0, 2.0, -v4
	v_fma_f16 v3, v3, 2.0, -v7
	;; [unrolled: 1-line block ×4, first 2 shown]
	v_fmamk_f16 v9, v5, 0xb9a8, v1
	v_fmac_f16_e32 v13, 0x39a8, v5
	v_sub_f16_e32 v3, v0, v3
	v_fma_f16 v4, v4, 2.0, -v11
	v_sub_f16_e32 v5, v14, v6
	v_fmac_f16_e32 v9, 0xb9a8, v10
	v_sub_f16_e32 v6, v2, v7
	v_fma_f16 v7, v8, 2.0, -v13
	v_fma_f16 v0, v0, 2.0, -v3
	;; [unrolled: 1-line block ×6, first 2 shown]
	v_pack_b32_f16 v3, v3, v5
	v_pack_b32_f16 v0, v0, v8
	;; [unrolled: 1-line block ×5, first 2 shown]
	v_add_nc_u32_e32 v7, 0x200, v42
	v_pack_b32_f16 v5, v13, v9
	v_add_nc_u32_e32 v8, 0x400, v42
	v_pack_b32_f16 v6, v11, v6
	v_pack_b32_f16 v9, v16, v19
	v_add_nc_u32_e32 v10, 0x800, v42
	ds_write2_b32 v42, v0, v1 offset0:64 offset1:144
	ds_write2_b32 v7, v2, v4 offset0:96 offset1:176
	;; [unrolled: 1-line block ×4, first 2 shown]
.LBB0_21:
	s_or_b32 exec_lo, exec_lo, s0
	s_waitcnt lgkmcnt(0)
	s_barrier
	buffer_gl0_inv
	ds_read_b32 v2, v52
	ds_read2_b32 v[0:1], v42 offset0:80 offset1:160
	ds_read_b32 v4, v42 offset:2240
	s_mov_b32 s16, 0x9999999a
	s_mov_b32 s17, 0x3f599999
	s_waitcnt lgkmcnt(2)
	v_lshrrev_b32_e32 v3, 16, v2
	v_mul_f16_sdwa v5, v51, v2 dst_sel:DWORD dst_unused:UNUSED_PAD src0_sel:WORD_1 src1_sel:DWORD
	s_waitcnt lgkmcnt(1)
	v_lshrrev_b32_e32 v6, 16, v0
	v_mul_f16_sdwa v7, v50, v0 dst_sel:DWORD dst_unused:UNUSED_PAD src0_sel:WORD_1 src1_sel:DWORD
	v_mul_f16_sdwa v8, v51, v3 dst_sel:DWORD dst_unused:UNUSED_PAD src0_sel:WORD_1 src1_sel:DWORD
	v_fma_f16 v3, v51, v3, -v5
	v_mul_f16_sdwa v13, v50, v6 dst_sel:DWORD dst_unused:UNUSED_PAD src0_sel:WORD_1 src1_sel:DWORD
	v_fma_f16 v5, v50, v6, -v7
	v_fmac_f16_e32 v8, v51, v2
	v_cvt_f32_f16_e32 v7, v3
	v_mad_u64_u32 v[2:3], null, s10, v27, 0
	v_cvt_f32_f16_e32 v9, v5
	v_cvt_f32_f16_e32 v11, v8
	v_cvt_f64_f32_e32 v[5:6], v7
	v_fmac_f16_e32 v13, v50, v0
	v_mad_u64_u32 v[7:8], null, s8, v49, 0
	v_cvt_f64_f32_e32 v[9:10], v9
	v_cvt_f64_f32_e32 v[11:12], v11
	v_mov_b32_e32 v0, v3
	v_cvt_f32_f16_e32 v15, v13
	v_mov_b32_e32 v3, v8
	v_mad_u64_u32 v[13:14], null, s11, v27, v[0:1]
	v_cvt_f64_f32_e32 v[14:15], v15
	s_waitcnt lgkmcnt(0)
	v_mad_u64_u32 v[16:17], null, s9, v49, v[3:4]
	v_lshrrev_b32_e32 v17, 16, v1
	v_mov_b32_e32 v3, v13
	v_mul_f64 v[5:6], v[5:6], s[16:17]
	v_mov_b32_e32 v8, v16
	v_lshlrev_b64 v[2:3], 2, v[2:3]
	v_mul_f16_sdwa v13, v48, v17 dst_sel:DWORD dst_unused:UNUSED_PAD src0_sel:WORD_1 src1_sel:DWORD
	v_mul_f64 v[9:10], v[9:10], s[16:17]
	v_mul_f64 v[11:12], v[11:12], s[16:17]
	v_lshlrev_b64 v[7:8], 2, v[7:8]
	v_mul_f16_sdwa v16, v48, v1 dst_sel:DWORD dst_unused:UNUSED_PAD src0_sel:WORD_1 src1_sel:DWORD
	v_add_co_u32 v2, s0, s2, v2
	v_fmac_f16_e32 v13, v48, v1
	v_add_co_ci_u32_e64 v3, s0, s3, v3, s0
	v_mul_f64 v[0:1], v[14:15], s[16:17]
	v_add_co_u32 v7, s0, v2, v7
	v_add_co_ci_u32_e64 v8, s0, v3, v8, s0
	v_cvt_f32_f16_e32 v13, v13
	v_and_or_b32 v5, 0x1ff, v6, v5
	v_cvt_f64_f32_e32 v[2:3], v13
	v_lshrrev_b32_e32 v13, 8, v6
	v_bfe_u32 v14, v6, 20, 11
	v_and_or_b32 v9, 0x1ff, v10, v9
	v_cmp_ne_u32_e64 s0, 0, v5
	v_and_or_b32 v11, 0x1ff, v12, v11
	v_lshrrev_b32_e32 v19, 8, v12
	v_bfe_u32 v20, v12, 20, 11
	v_bfe_u32 v18, v10, 20, 11
	v_cndmask_b32_e64 v5, 0, 1, s0
	v_cmp_ne_u32_e64 s0, 0, v9
	v_lshrrev_b32_e32 v15, 8, v10
	v_and_or_b32 v0, 0x1ff, v1, v0
	v_sub_nc_u32_e32 v29, 0x3f1, v20
	v_sub_nc_u32_e32 v21, 0x3f1, v14
	v_cndmask_b32_e64 v9, 0, 1, s0
	v_cmp_ne_u32_e64 s0, 0, v11
	v_lshrrev_b32_e32 v22, 8, v1
	v_sub_nc_u32_e32 v28, 0x3f1, v18
	v_and_or_b32 v5, 0xffe, v13, v5
	v_add_nc_u32_e32 v14, 0xfffffc10, v14
	v_cndmask_b32_e64 v11, 0, 1, s0
	v_cmp_ne_u32_e64 s0, 0, v0
	v_med3_i32 v13, v21, 0, 13
	v_and_or_b32 v9, 0xffe, v15, v9
	v_med3_i32 v15, v28, 0, 13
	v_and_or_b32 v11, 0xffe, v19, v11
	v_cndmask_b32_e64 v0, 0, 1, s0
	v_med3_i32 v19, v29, 0, 13
	v_or_b32_e32 v28, 0x1000, v5
	v_cmp_ne_u32_e64 s0, 0, v5
	v_or_b32_e32 v29, 0x1000, v11
	v_and_or_b32 v0, 0xffe, v22, v0
	v_add_nc_u32_e32 v20, 0xfffffc10, v20
	v_lshl_or_b32 v30, v14, 12, v5
	v_cndmask_b32_e64 v5, 0, 1, s0
	v_lshrrev_b32_e32 v22, v19, v29
	v_lshrrev_b32_e32 v31, v13, v28
	v_cmp_ne_u32_e64 s0, 0, v11
	v_bfe_u32 v27, v1, 20, 11
	v_lshl_or_b32 v33, v20, 12, v11
	v_lshlrev_b32_e32 v19, v19, v22
	v_lshlrev_b32_e32 v13, v13, v31
	v_cndmask_b32_e64 v11, 0, 1, s0
	v_sub_nc_u32_e32 v21, 0x3f1, v27
	v_add_nc_u32_e32 v27, 0xfffffc10, v27
	v_cmp_ne_u32_e64 s0, v19, v29
	v_or_b32_e32 v32, 0x1000, v9
	v_lshl_or_b32 v11, v11, 9, 0x7c00
	v_med3_i32 v21, v21, 0, 13
	v_lshl_or_b32 v29, v27, 12, v0
	v_cndmask_b32_e64 v19, 0, 1, s0
	v_cmp_ne_u32_e64 s0, v13, v28
	v_or_b32_e32 v28, 0x1000, v0
	v_lshl_or_b32 v5, v5, 9, 0x7c00
	v_lshrrev_b32_e32 v12, 16, v12
	v_or_b32_e32 v19, v22, v19
	v_cndmask_b32_e64 v13, 0, 1, s0
	v_cmp_gt_i32_e64 s0, 1, v20
	v_lshrrev_b32_e32 v22, v15, v32
	v_lshrrev_b32_e32 v6, 16, v6
	;; [unrolled: 1-line block ×3, first 2 shown]
	v_or_b32_e32 v13, v31, v13
	v_lshrrev_b32_e32 v31, v21, v28
	v_cndmask_b32_e64 v19, v33, v19, s0
	v_cmp_gt_i32_e64 s0, 1, v14
	v_lshlrev_b32_e32 v15, v15, v22
	v_lshlrev_b32_e32 v21, v21, v31
	v_cndmask_b32_e64 v13, v30, v13, s0
	v_and_b32_e32 v30, 7, v19
	v_lshrrev_b32_e32 v19, 2, v19
	v_cmp_ne_u32_e64 s0, v21, v28
	v_and_b32_e32 v33, 7, v13
	v_cmp_eq_u32_e64 s1, 3, v30
	v_lshrrev_b32_e32 v13, 2, v13
	v_cndmask_b32_e64 v21, 0, 1, s0
	v_cmp_lt_i32_e64 s0, 5, v30
	v_cmp_lt_i32_e64 s2, 5, v33
	v_cmp_eq_u32_e64 s3, 3, v33
	v_or_b32_e32 v21, v31, v21
	s_or_b32 s0, s1, s0
	v_add_co_ci_u32_e64 v19, s0, 0, v19, s0
	s_or_b32 s0, s3, s2
	v_cmp_eq_u32_e64 s2, 0x40f, v27
	v_add_co_ci_u32_e64 v13, s0, 0, v13, s0
	v_cmp_gt_i32_e64 s0, 31, v20
	v_cndmask_b32_e64 v19, 0x7c00, v19, s0
	v_cmp_gt_i32_e64 s0, 31, v14
	v_cndmask_b32_e64 v13, 0x7c00, v13, s0
	v_cmp_eq_u32_e64 s0, 0x40f, v20
	v_cndmask_b32_e64 v11, v19, v11, s0
	v_cmp_gt_i32_e64 s0, 1, v27
	v_and_or_b32 v11, 0x8000, v12, v11
	v_cndmask_b32_e64 v19, v29, v21, s0
	v_cmp_eq_u32_e64 s0, 0x40f, v14
	v_cndmask_b32_e64 v5, v13, v5, s0
	v_cmp_ne_u32_e64 s0, v15, v32
	v_and_b32_e32 v13, 7, v19
	v_add_nc_u32_e32 v15, 0xfffffc10, v18
	v_and_or_b32 v5, 0x8000, v6, v5
	v_cndmask_b32_e64 v12, 0, 1, s0
	v_cmp_lt_i32_e64 s0, 5, v13
	v_cmp_eq_u32_e64 s1, 3, v13
	v_and_b32_e32 v6, 0xffff, v11
	v_or_b32_e32 v11, v22, v12
	v_lshrrev_b32_e32 v12, 2, v19
	s_or_b32 s0, s1, s0
	v_lshl_or_b32 v18, v5, 16, v6
	v_mul_f64 v[5:6], v[2:3], s[16:17]
	v_lshl_or_b32 v3, v15, 12, v9
	v_add_co_ci_u32_e64 v13, s0, 0, v12, s0
	v_cmp_gt_i32_e64 s0, 1, v15
	v_fma_f16 v2, v48, v17, -v16
	global_store_dword v[7:8], v18, off
	v_cndmask_b32_e64 v16, v3, v11, s0
	v_cmp_ne_u32_e64 s0, 0, v0
	v_cvt_f32_f16_e32 v2, v2
	v_add_nc_u32_e32 v3, 0x200, v42
	v_cndmask_b32_e64 v0, 0, 1, s0
	v_cmp_gt_i32_e64 s0, 31, v27
	v_cvt_f64_f32_e32 v[11:12], v2
	v_and_b32_e32 v2, 7, v16
	v_lshl_or_b32 v0, v0, 9, 0x7c00
	v_cndmask_b32_e64 v17, 0x7c00, v13, s0
	v_and_or_b32 v5, 0x1ff, v6, v5
	v_cmp_lt_i32_e64 s0, 5, v2
	v_cmp_eq_u32_e64 s1, 3, v2
	ds_read2_b32 v[13:14], v3 offset0:112 offset1:192
	v_cndmask_b32_e64 v2, v17, v0, s2
	v_lshrrev_b32_e32 v0, 2, v16
	v_lshrrev_b32_e32 v19, 8, v6
	s_or_b32 s0, s1, s0
	v_bfe_u32 v20, v6, 20, 11
	v_lshrrev_b32_e32 v16, 16, v1
	v_add_co_ci_u32_e64 v17, s0, 0, v0, s0
	v_cmp_ne_u32_e64 s0, 0, v5
	s_mul_i32 s1, s9, 0x50
	v_and_or_b32 v2, 0x8000, v16, v2
	s_mul_hi_u32 s2, s8, 0x50
	v_cndmask_b32_e64 v5, 0, 1, s0
	v_mul_f64 v[0:1], v[11:12], s[16:17]
	v_cmp_ne_u32_e64 s0, 0, v9
	v_sub_nc_u32_e32 v11, 0x3f1, v20
	v_and_b32_e32 v2, 0xffff, v2
	v_and_or_b32 v5, 0xffe, v19, v5
	s_waitcnt lgkmcnt(0)
	v_lshrrev_b32_e32 v12, 16, v13
	v_cndmask_b32_e64 v9, 0, 1, s0
	v_cmp_gt_i32_e64 s0, 31, v15
	v_med3_i32 v11, v11, 0, 13
	v_or_b32_e32 v19, 0x1000, v5
	v_mul_f16_sdwa v21, v47, v12 dst_sel:DWORD dst_unused:UNUSED_PAD src0_sel:WORD_1 src1_sel:DWORD
	v_lshl_or_b32 v9, v9, 9, 0x7c00
	v_cndmask_b32_e64 v17, 0x7c00, v17, s0
	v_cmp_eq_u32_e64 s0, 0x40f, v15
	v_lshrrev_b32_e32 v15, v11, v19
	v_fmac_f16_e32 v21, v47, v13
	s_add_i32 s1, s2, s1
	v_mul_f16_sdwa v13, v47, v13 dst_sel:DWORD dst_unused:UNUSED_PAD src0_sel:WORD_1 src1_sel:DWORD
	v_cndmask_b32_e64 v9, v17, v9, s0
	v_lshlrev_b32_e32 v11, v11, v15
	v_add_nc_u32_e32 v17, 0xfffffc10, v20
	v_and_or_b32 v0, 0x1ff, v1, v0
	v_and_or_b32 v16, 0x8000, v10, v9
	v_cmp_ne_u32_e64 s0, v11, v19
	v_cvt_f32_f16_e32 v9, v21
	v_lshrrev_b32_e32 v18, 8, v1
	v_bfe_u32 v19, v1, 20, 11
	v_lshl_or_b32 v2, v16, 16, v2
	v_cndmask_b32_e64 v11, 0, 1, s0
	v_cmp_ne_u32_e64 s0, 0, v0
	v_cvt_f64_f32_e32 v[9:10], v9
	v_fma_f16 v12, v47, v12, -v13
	v_add_nc_u32_e32 v13, 0xfffffc10, v19
	v_or_b32_e32 v11, v15, v11
	v_cndmask_b32_e64 v0, 0, 1, s0
	v_lshl_or_b32 v15, v17, 12, v5
	v_cmp_gt_i32_e64 s0, 1, v17
	v_lshrrev_b32_e32 v1, 16, v1
	v_and_or_b32 v0, 0xffe, v18, v0
	v_sub_nc_u32_e32 v18, 0x3f1, v19
	v_cndmask_b32_e64 v11, v15, v11, s0
	s_mul_i32 s0, s8, 0x50
	v_or_b32_e32 v15, 0x1000, v0
	v_med3_i32 v18, v18, 0, 13
	s_lshl_b64 s[18:19], s[0:1], 2
	v_and_b32_e32 v16, 7, v11
	v_add_co_u32 v7, s0, v7, s18
	v_lshrrev_b32_e32 v20, v18, v15
	v_add_co_ci_u32_e64 v8, s0, s19, v8, s0
	v_mul_f64 v[9:10], v[9:10], s[16:17]
	v_cmp_lt_i32_e64 s0, 5, v16
	v_lshlrev_b32_e32 v18, v18, v20
	v_cmp_eq_u32_e64 s1, 3, v16
	v_lshrrev_b32_e32 v11, 2, v11
	global_store_dword v[7:8], v2, off
	v_cmp_ne_u32_e64 s2, v18, v15
	s_or_b32 s0, s1, s0
	v_lshl_or_b32 v18, v13, 12, v0
	v_add_co_ci_u32_e64 v16, s0, 0, v11, s0
	v_cndmask_b32_e64 v15, 0, 1, s2
	v_cmp_ne_u32_e64 s0, 0, v5
	v_cvt_f32_f16_e32 v11, v12
	v_or_b32_e32 v15, v20, v15
	v_cndmask_b32_e64 v5, 0, 1, s0
	v_cmp_gt_i32_e64 s0, 1, v13
	v_cvt_f64_f32_e32 v[11:12], v11
	v_and_or_b32 v9, 0x1ff, v10, v9
	v_lshl_or_b32 v5, v5, 9, 0x7c00
	v_cndmask_b32_e64 v15, v18, v15, s0
	v_cmp_gt_i32_e64 s0, 31, v17
	v_bfe_u32 v20, v10, 20, 11
	v_lshrrev_b32_e32 v19, 8, v10
	v_and_b32_e32 v18, 7, v15
	v_cndmask_b32_e64 v16, 0x7c00, v16, s0
	v_cmp_ne_u32_e64 s0, 0, v9
	v_lshrrev_b32_e32 v15, 2, v15
	v_cmp_eq_u32_e64 s1, 3, v18
	v_cndmask_b32_e64 v9, 0, 1, s0
	v_cmp_eq_u32_e64 s0, 0x40f, v17
	v_lshrrev_b32_e32 v17, 16, v6
	v_and_or_b32 v9, 0xffe, v19, v9
	v_cndmask_b32_e64 v16, v16, v5, s0
	v_sub_nc_u32_e32 v5, 0x3f1, v20
	v_cmp_lt_i32_e64 s0, 5, v18
	v_or_b32_e32 v18, 0x1000, v9
	v_and_or_b32 v16, 0x8000, v17, v16
	v_med3_i32 v19, v5, 0, 13
	v_mul_f64 v[5:6], v[11:12], s[16:17]
	s_or_b32 s0, s1, s0
	v_lshrrev_b32_e32 v11, 16, v14
	v_add_co_ci_u32_e64 v12, s0, 0, v15, s0
	v_cmp_ne_u32_e64 s0, 0, v0
	v_lshrrev_b32_e32 v15, v19, v18
	v_mul_f16_sdwa v21, v46, v11 dst_sel:DWORD dst_unused:UNUSED_PAD src0_sel:WORD_1 src1_sel:DWORD
	v_and_b32_e32 v16, 0xffff, v16
	v_cndmask_b32_e64 v0, 0, 1, s0
	v_cmp_gt_i32_e64 s0, 31, v13
	v_lshlrev_b32_e32 v17, v19, v15
	v_fmac_f16_e32 v21, v46, v14
	v_mul_f16_sdwa v14, v46, v14 dst_sel:DWORD dst_unused:UNUSED_PAD src0_sel:WORD_1 src1_sel:DWORD
	v_lshl_or_b32 v0, v0, 9, 0x7c00
	v_cndmask_b32_e64 v12, 0x7c00, v12, s0
	v_cmp_eq_u32_e64 s0, 0x40f, v13
	v_fma_f16 v11, v46, v11, -v14
	v_cndmask_b32_e64 v0, v12, v0, s0
	v_cmp_ne_u32_e64 s0, v17, v18
	v_and_or_b32 v5, 0x1ff, v6, v5
	v_cvt_f32_f16_e32 v12, v21
	v_add_nc_u32_e32 v17, 0xfffffc10, v20
	v_and_or_b32 v18, 0x8000, v1, v0
	v_cndmask_b32_e64 v13, 0, 1, s0
	v_cmp_ne_u32_e64 s0, 0, v5
	v_cvt_f64_f32_e32 v[0:1], v12
	v_bfe_u32 v19, v6, 20, 11
	v_lshl_or_b32 v2, v18, 16, v16
	v_or_b32_e32 v12, v15, v13
	v_lshl_or_b32 v13, v17, 12, v9
	v_cndmask_b32_e64 v5, 0, 1, s0
	v_lshrrev_b32_e32 v15, 8, v6
	v_cmp_gt_i32_e64 s0, 1, v17
	v_lshrrev_b32_e32 v6, 16, v6
	v_and_or_b32 v5, 0xffe, v15, v5
	v_cndmask_b32_e64 v12, v13, v12, s0
	v_sub_nc_u32_e32 v13, 0x3f1, v19
	v_add_co_u32 v7, s0, v7, s18
	v_or_b32_e32 v16, 0x1000, v5
	v_and_b32_e32 v15, 7, v12
	v_med3_i32 v13, v13, 0, 13
	v_add_co_ci_u32_e64 v8, s0, s19, v8, s0
	v_add_nc_u32_e32 v19, 0xfffffc10, v19
	v_cmp_lt_i32_e64 s0, 5, v15
	v_lshrrev_b32_e32 v18, v13, v16
	v_cmp_eq_u32_e64 s1, 3, v15
	v_mul_f64 v[0:1], v[0:1], s[16:17]
	global_store_dword v[7:8], v2, off
	v_lshrrev_b32_e32 v2, 2, v12
	v_lshlrev_b32_e32 v12, v13, v18
	s_or_b32 s0, s1, s0
	v_cvt_f32_f16_e32 v13, v11
	v_add_co_u32 v7, s2, v7, s18
	v_add_co_ci_u32_e64 v15, s0, 0, v2, s0
	v_cmp_ne_u32_e64 s0, v12, v16
	v_add_nc_u32_e32 v2, 0x400, v42
	v_cvt_f64_f32_e32 v[13:14], v13
	v_add_co_ci_u32_e64 v8, s2, s19, v8, s2
	v_cndmask_b32_e64 v16, 0, 1, s0
	v_cmp_ne_u32_e64 s0, 0, v9
	ds_read2_b32 v[11:12], v2 offset0:144 offset1:224
	v_or_b32_e32 v16, v18, v16
	v_cndmask_b32_e64 v9, 0, 1, s0
	v_cmp_gt_i32_e64 s0, 31, v17
	v_lshl_or_b32 v18, v19, 12, v5
	v_and_or_b32 v0, 0x1ff, v1, v0
	v_bfe_u32 v20, v1, 20, 11
	v_lshl_or_b32 v9, v9, 9, 0x7c00
	v_cndmask_b32_e64 v15, 0x7c00, v15, s0
	v_cmp_gt_i32_e64 s0, 1, v19
	v_sub_nc_u32_e32 v21, 0x3f1, v20
	v_add_nc_u32_e32 v20, 0xfffffc10, v20
	v_cndmask_b32_e64 v16, v18, v16, s0
	v_cmp_ne_u32_e64 s0, 0, v0
	v_lshrrev_b32_e32 v18, 8, v1
	v_lshrrev_b32_e32 v1, 16, v1
	s_waitcnt lgkmcnt(0)
	v_lshrrev_b32_e32 v22, 16, v11
	v_cndmask_b32_e64 v0, 0, 1, s0
	v_cmp_eq_u32_e64 s0, 0x40f, v17
	v_and_b32_e32 v17, 7, v16
	v_lshrrev_b32_e32 v16, 2, v16
	v_and_or_b32 v0, 0xffe, v18, v0
	v_cndmask_b32_e64 v15, v15, v9, s0
	v_cmp_lt_i32_e64 s0, 5, v17
	v_cmp_eq_u32_e64 s1, 3, v17
	v_lshrrev_b32_e32 v18, 16, v10
	v_mul_f64 v[9:10], v[13:14], s[16:17]
	v_or_b32_e32 v27, 0x1000, v0
	v_med3_i32 v13, v21, 0, 13
	v_mul_f16_sdwa v14, v45, v22 dst_sel:DWORD dst_unused:UNUSED_PAD src0_sel:WORD_1 src1_sel:DWORD
	s_or_b32 s0, s1, s0
	v_and_or_b32 v15, 0x8000, v18, v15
	v_add_co_ci_u32_e64 v16, s0, 0, v16, s0
	v_lshrrev_b32_e32 v17, v13, v27
	v_cmp_ne_u32_e64 s0, 0, v5
	v_fmac_f16_e32 v14, v45, v11
	v_and_b32_e32 v15, 0xffff, v15
	v_mul_f16_sdwa v11, v45, v11 dst_sel:DWORD dst_unused:UNUSED_PAD src0_sel:WORD_1 src1_sel:DWORD
	v_lshlrev_b32_e32 v18, v13, v17
	v_cndmask_b32_e64 v5, 0, 1, s0
	v_cmp_gt_i32_e64 s0, 31, v19
	v_cvt_f32_f16_e32 v14, v14
	v_fma_f16 v11, v45, v22, -v11
	v_lshl_or_b32 v5, v5, 9, 0x7c00
	v_cndmask_b32_e64 v16, 0x7c00, v16, s0
	v_cmp_ne_u32_e64 s0, v18, v27
	v_cvt_f64_f32_e32 v[13:14], v14
	v_and_or_b32 v9, 0x1ff, v10, v9
	v_cvt_f32_f16_e32 v11, v11
	v_cndmask_b32_e64 v18, 0, 1, s0
	v_cmp_eq_u32_e64 s0, 0x40f, v19
	v_bfe_u32 v19, v10, 20, 11
	v_cndmask_b32_e64 v5, v16, v5, s0
	v_cmp_ne_u32_e64 s0, 0, v9
	v_or_b32_e32 v16, v17, v18
	v_lshrrev_b32_e32 v18, 8, v10
	v_lshl_or_b32 v17, v20, 12, v0
	v_lshrrev_b32_e32 v10, 16, v10
	v_cndmask_b32_e64 v9, 0, 1, s0
	v_cmp_gt_i32_e64 s0, 1, v20
	v_and_or_b32 v9, 0xffe, v18, v9
	v_sub_nc_u32_e32 v18, 0x3f1, v19
	v_cndmask_b32_e64 v16, v17, v16, s0
	v_and_or_b32 v17, 0x8000, v6, v5
	v_mul_f64 v[5:6], v[13:14], s[16:17]
	v_or_b32_e32 v27, 0x1000, v9
	v_med3_i32 v13, v18, 0, 13
	v_and_b32_e32 v21, 7, v16
	v_lshl_or_b32 v15, v17, 16, v15
	v_lshrrev_b32_e32 v14, 2, v16
	v_lshrrev_b32_e32 v17, v13, v27
	v_cmp_lt_i32_e64 s0, 5, v21
	v_cmp_eq_u32_e64 s1, 3, v21
	v_lshlrev_b32_e32 v13, v13, v17
	s_or_b32 s0, s1, s0
	v_add_co_ci_u32_e64 v16, s0, 0, v14, s0
	v_cmp_ne_u32_e64 s0, v13, v27
	v_cvt_f64_f32_e32 v[13:14], v11
	v_add_nc_u32_e32 v11, 0xfffffc10, v19
	v_and_or_b32 v5, 0x1ff, v6, v5
	v_cndmask_b32_e64 v18, 0, 1, s0
	v_cmp_gt_i32_e64 s0, 31, v20
	v_lshrrev_b32_e32 v19, 8, v6
	v_bfe_u32 v21, v6, 20, 11
	v_or_b32_e32 v17, v17, v18
	v_cndmask_b32_e64 v16, 0x7c00, v16, s0
	v_cmp_ne_u32_e64 s0, 0, v5
	v_lshl_or_b32 v18, v11, 12, v9
	v_cndmask_b32_e64 v5, 0, 1, s0
	v_cmp_ne_u32_e64 s0, 0, v0
	v_and_or_b32 v5, 0xffe, v19, v5
	v_cndmask_b32_e64 v0, 0, 1, s0
	v_cmp_gt_i32_e64 s0, 1, v11
	v_lshrrev_b32_e32 v19, 16, v12
	v_mul_f64 v[13:14], v[13:14], s[16:17]
	v_or_b32_e32 v27, 0x1000, v5
	v_lshl_or_b32 v0, v0, 9, 0x7c00
	v_cndmask_b32_e64 v17, v18, v17, s0
	v_sub_nc_u32_e32 v18, 0x3f1, v21
	v_cmp_eq_u32_e64 s0, 0x40f, v20
	v_mul_f16_sdwa v28, v44, v19 dst_sel:DWORD dst_unused:UNUSED_PAD src0_sel:WORD_1 src1_sel:DWORD
	v_add_nc_u32_e32 v21, 0xfffffc10, v21
	v_and_b32_e32 v22, 7, v17
	v_med3_i32 v18, v18, 0, 13
	v_cndmask_b32_e64 v0, v16, v0, s0
	v_fmac_f16_e32 v28, v44, v12
	v_cmp_lt_i32_e64 s0, 5, v22
	v_lshrrev_b32_e32 v16, v18, v27
	v_cmp_eq_u32_e64 s1, 3, v22
	v_and_or_b32 v20, 0x8000, v1, v0
	v_lshrrev_b32_e32 v0, 2, v17
	v_cvt_f32_f16_e32 v17, v28
	v_lshlrev_b32_e32 v1, v18, v16
	s_or_b32 s0, s1, s0
	v_add_co_ci_u32_e64 v18, s0, 0, v0, s0
	v_cmp_ne_u32_e64 s0, v1, v27
	v_cvt_f64_f32_e32 v[0:1], v17
	v_lshl_or_b32 v17, v21, 12, v5
	v_and_or_b32 v13, 0x1ff, v14, v13
	v_cndmask_b32_e64 v22, 0, 1, s0
	v_cmp_ne_u32_e64 s0, 0, v9
	v_or_b32_e32 v16, v16, v22
	v_cndmask_b32_e64 v9, 0, 1, s0
	v_cmp_gt_i32_e64 s0, 31, v11
	v_bfe_u32 v22, v14, 20, 11
	v_lshl_or_b32 v9, v9, 9, 0x7c00
	v_cndmask_b32_e64 v18, 0x7c00, v18, s0
	v_cmp_gt_i32_e64 s0, 1, v21
	v_cndmask_b32_e64 v16, v17, v16, s0
	v_cmp_ne_u32_e64 s0, 0, v13
	v_lshrrev_b32_e32 v17, 8, v14
	v_mul_f64 v[0:1], v[0:1], s[16:17]
	v_and_b32_e32 v27, 7, v16
	v_cndmask_b32_e64 v13, 0, 1, s0
	v_cmp_eq_u32_e64 s0, 0x40f, v11
	v_sub_nc_u32_e32 v11, 0x3f1, v22
	v_cmp_eq_u32_e64 s1, 3, v27
	v_and_or_b32 v13, 0xffe, v17, v13
	v_cndmask_b32_e64 v9, v18, v9, s0
	v_cmp_lt_i32_e64 s0, 5, v27
	v_med3_i32 v11, v11, 0, 13
	v_or_b32_e32 v17, 0x1000, v13
	v_and_or_b32 v9, 0x8000, v10, v9
	v_lshrrev_b32_e32 v10, 2, v16
	s_or_b32 s0, s1, s0
	v_and_b32_e32 v16, 0xffff, v20
	v_lshrrev_b32_e32 v18, v11, v17
	v_lshrrev_b32_e32 v20, 16, v4
	v_add_co_ci_u32_e64 v10, s0, 0, v10, s0
	v_cmp_ne_u32_e64 s0, 0, v5
	v_lshl_or_b32 v16, v9, 16, v16
	v_lshlrev_b32_e32 v9, v11, v18
	v_mul_f16_sdwa v11, v44, v12 dst_sel:DWORD dst_unused:UNUSED_PAD src0_sel:WORD_1 src1_sel:DWORD
	v_and_or_b32 v0, 0x1ff, v1, v0
	v_cndmask_b32_e64 v5, 0, 1, s0
	v_cmp_gt_i32_e64 s0, 31, v21
	v_mul_f16_sdwa v28, v43, v20 dst_sel:DWORD dst_unused:UNUSED_PAD src0_sel:WORD_1 src1_sel:DWORD
	v_fma_f16 v11, v44, v19, -v11
	v_bfe_u32 v19, v1, 20, 11
	v_lshl_or_b32 v5, v5, 9, 0x7c00
	v_cndmask_b32_e64 v10, 0x7c00, v10, s0
	v_cmp_ne_u32_e64 s0, v9, v17
	v_add_nc_u32_e32 v17, 0xfffffc10, v22
	v_fmac_f16_e32 v28, v43, v4
	v_mul_f16_sdwa v4, v43, v4 dst_sel:DWORD dst_unused:UNUSED_PAD src0_sel:WORD_1 src1_sel:DWORD
	v_cndmask_b32_e64 v9, 0, 1, s0
	v_cmp_eq_u32_e64 s0, 0x40f, v21
	v_fma_f16 v4, v43, v20, -v4
	v_cndmask_b32_e64 v12, v10, v5, s0
	v_cmp_ne_u32_e64 s0, 0, v0
	v_or_b32_e32 v5, v18, v9
	v_cvt_f32_f16_e32 v9, v11
	v_lshl_or_b32 v18, v17, 12, v13
	v_lshrrev_b32_e32 v11, 8, v1
	v_cndmask_b32_e64 v0, 0, 1, s0
	v_cmp_gt_i32_e64 s0, 1, v17
	v_cvt_f64_f32_e32 v[9:10], v9
	v_cvt_f32_f16_e32 v4, v4
	v_lshrrev_b32_e32 v1, 16, v1
	v_and_or_b32 v0, 0xffe, v11, v0
	v_cndmask_b32_e64 v18, v18, v5, s0
	v_sub_nc_u32_e32 v5, 0x3f1, v19
	v_lshrrev_b32_e32 v11, 16, v6
	v_add_nc_u32_e32 v19, 0xfffffc10, v19
	v_or_b32_e32 v22, 0x1000, v0
	v_and_b32_e32 v21, 7, v18
	v_med3_i32 v27, v5, 0, 13
	v_add_co_u32 v5, s0, v7, s18
	v_add_co_ci_u32_e64 v6, s0, s19, v8, s0
	v_lshrrev_b32_e32 v30, v27, v22
	v_cmp_lt_i32_e64 s0, 5, v21
	v_cmp_eq_u32_e64 s1, 3, v21
	v_and_or_b32 v29, 0x8000, v11, v12
	v_lshrrev_b32_e32 v11, 2, v18
	v_lshlrev_b32_e32 v18, v27, v30
	v_cvt_f32_f16_e32 v12, v28
	s_or_b32 s0, s1, s0
	v_mul_f64 v[9:10], v[9:10], s[16:17]
	v_add_co_ci_u32_e64 v21, s0, 0, v11, s0
	v_cmp_ne_u32_e64 s0, v18, v22
	v_cvt_f64_f32_e32 v[11:12], v12
	v_lshl_or_b32 v22, v19, 12, v0
	v_cndmask_b32_e64 v18, 0, 1, s0
	v_cmp_ne_u32_e64 s0, 0, v13
	v_or_b32_e32 v18, v30, v18
	v_cndmask_b32_e64 v13, 0, 1, s0
	v_cmp_gt_i32_e64 s0, 31, v17
	v_lshl_or_b32 v13, v13, 9, 0x7c00
	v_cndmask_b32_e64 v20, 0x7c00, v21, s0
	v_cmp_gt_i32_e64 s0, 1, v19
	v_and_or_b32 v9, 0x1ff, v10, v9
	v_lshrrev_b32_e32 v21, 8, v10
	v_cndmask_b32_e64 v18, v22, v18, s0
	v_cmp_eq_u32_e64 s0, 0x40f, v17
	v_mul_f64 v[11:12], v[11:12], s[16:17]
	v_bfe_u32 v22, v10, 20, 11
	v_lshrrev_b32_e32 v10, 16, v10
	v_cndmask_b32_e64 v17, v20, v13, s0
	v_lshrrev_b32_e32 v20, 16, v14
	v_cvt_f64_f32_e32 v[13:14], v4
	v_cmp_ne_u32_e64 s0, 0, v9
	v_and_b32_e32 v4, 7, v18
	v_and_or_b32 v17, 0x8000, v20, v17
	v_and_b32_e32 v20, 0xffff, v29
	v_cndmask_b32_e64 v9, 0, 1, s0
	v_cmp_lt_i32_e64 s0, 5, v4
	v_cmp_eq_u32_e64 s1, 3, v4
	v_lshl_or_b32 v4, v17, 16, v20
	v_lshrrev_b32_e32 v17, 2, v18
	v_and_or_b32 v9, 0xffe, v21, v9
	v_sub_nc_u32_e32 v21, 0x3f1, v22
	s_or_b32 s0, s1, s0
	v_add_co_ci_u32_e64 v17, s0, 0, v17, s0
	v_or_b32_e32 v18, 0x1000, v9
	v_med3_i32 v20, v21, 0, 13
	v_cmp_ne_u32_e64 s0, 0, v0
	v_and_or_b32 v11, 0x1ff, v12, v11
	v_mul_f64 v[13:14], v[13:14], s[16:17]
	v_lshrrev_b32_e32 v27, 8, v12
	v_lshrrev_b32_e32 v21, v20, v18
	v_cndmask_b32_e64 v0, 0, 1, s0
	v_cmp_gt_i32_e64 s0, 31, v19
	v_bfe_u32 v28, v12, 20, 11
	v_lshrrev_b32_e32 v12, 16, v12
	v_lshlrev_b32_e32 v20, v20, v21
	v_lshl_or_b32 v0, v0, 9, 0x7c00
	v_cndmask_b32_e64 v17, 0x7c00, v17, s0
	v_cmp_ne_u32_e64 s0, 0, v11
	v_cndmask_b32_e64 v11, 0, 1, s0
	v_cmp_ne_u32_e64 s0, v20, v18
	v_add_nc_u32_e32 v20, 0xfffffc10, v22
	v_sub_nc_u32_e32 v22, 0x3f1, v28
	v_and_or_b32 v11, 0xffe, v27, v11
	v_cndmask_b32_e64 v18, 0, 1, s0
	v_cmp_eq_u32_e64 s0, 0x40f, v19
	v_and_or_b32 v13, 0x1ff, v14, v13
	v_bfe_u32 v27, v14, 20, 11
	v_or_b32_e32 v19, 0x1000, v11
	v_cndmask_b32_e64 v0, v17, v0, s0
	v_or_b32_e32 v17, v21, v18
	v_lshl_or_b32 v18, v20, 12, v9
	v_med3_i32 v21, v22, 0, 13
	v_cmp_gt_i32_e64 s0, 1, v20
	v_lshrrev_b32_e32 v22, 8, v14
	v_and_or_b32 v0, 0x8000, v1, v0
	v_cndmask_b32_e64 v17, v18, v17, s0
	v_lshrrev_b32_e32 v18, v21, v19
	v_cmp_ne_u32_e64 s0, 0, v13
	v_and_b32_e32 v0, 0xffff, v0
	v_and_b32_e32 v29, 7, v17
	v_lshlrev_b32_e32 v21, v21, v18
	v_cndmask_b32_e64 v13, 0, 1, s0
	v_lshrrev_b32_e32 v17, 2, v17
	v_cmp_lt_i32_e64 s0, 5, v29
	v_cmp_ne_u32_e64 s1, v21, v19
	v_and_or_b32 v1, 0xffe, v22, v13
	v_sub_nc_u32_e32 v13, 0x3f1, v27
	v_add_nc_u32_e32 v22, 0xfffffc10, v28
	v_cndmask_b32_e64 v19, 0, 1, s1
	v_cmp_eq_u32_e64 s1, 3, v29
	v_or_b32_e32 v21, 0x1000, v1
	v_med3_i32 v13, v13, 0, 13
	v_lshl_or_b32 v28, v22, 12, v11
	v_or_b32_e32 v18, v18, v19
	s_or_b32 s0, s1, s0
	v_add_co_ci_u32_e64 v17, s0, 0, v17, s0
	v_lshrrev_b32_e32 v19, v13, v21
	v_cmp_gt_i32_e64 s0, 1, v22
	v_lshlrev_b32_e32 v13, v13, v19
	v_cndmask_b32_e64 v18, v28, v18, s0
	v_cmp_ne_u32_e64 s0, 0, v9
	v_cndmask_b32_e64 v9, 0, 1, s0
	v_cmp_ne_u32_e64 s0, v13, v21
	v_add_nc_u32_e32 v21, 0xfffffc10, v27
	v_and_b32_e32 v27, 7, v18
	v_lshl_or_b32 v9, v9, 9, 0x7c00
	v_cndmask_b32_e64 v13, 0, 1, s0
	v_cmp_gt_i32_e64 s0, 31, v20
	v_cmp_gt_i32_e64 s2, 1, v21
	v_cmp_eq_u32_e64 s1, 3, v27
	v_or_b32_e32 v13, v19, v13
	v_lshl_or_b32 v19, v21, 12, v1
	v_cndmask_b32_e64 v17, 0x7c00, v17, s0
	v_cmp_lt_i32_e64 s0, 5, v27
	v_cndmask_b32_e64 v13, v19, v13, s2
	v_cmp_eq_u32_e64 s2, 0x40f, v20
	s_or_b32 s0, s1, s0
	v_cndmask_b32_e64 v9, v17, v9, s2
	v_lshrrev_b32_e32 v17, 2, v18
	v_and_b32_e32 v18, 7, v13
	v_lshrrev_b32_e32 v13, 2, v13
	v_cmp_gt_i32_e64 s2, 31, v22
	v_add_co_ci_u32_e64 v17, s0, 0, v17, s0
	v_cmp_ne_u32_e64 s0, 0, v11
	v_cmp_eq_u32_e64 s1, 3, v18
	v_cndmask_b32_e64 v17, 0x7c00, v17, s2
	v_cndmask_b32_e64 v11, 0, 1, s0
	v_cmp_lt_i32_e64 s0, 5, v18
	v_lshl_or_b32 v11, v11, 9, 0x7c00
	s_or_b32 s0, s1, s0
	v_add_co_ci_u32_e64 v13, s0, 0, v13, s0
	v_cmp_ne_u32_e64 s0, 0, v1
	v_cndmask_b32_e64 v1, 0, 1, s0
	v_cmp_eq_u32_e64 s0, 0x40f, v22
	v_lshl_or_b32 v1, v1, 9, 0x7c00
	v_cndmask_b32_e64 v11, v17, v11, s0
	v_cmp_gt_i32_e64 s0, 31, v21
	v_and_or_b32 v17, 0x8000, v10, v9
	v_and_or_b32 v11, 0x8000, v12, v11
	v_cndmask_b32_e64 v13, 0x7c00, v13, s0
	v_cmp_eq_u32_e64 s0, 0x40f, v21
	v_lshrrev_b32_e32 v12, 16, v14
	v_cndmask_b32_e64 v1, v13, v1, s0
	v_add_co_u32 v9, s0, v5, s18
	v_add_co_ci_u32_e64 v10, s0, s19, v6, s0
	v_lshl_or_b32 v13, v17, 16, v0
	v_and_or_b32 v0, 0x8000, v12, v1
	v_and_b32_e32 v1, 0xffff, v11
	v_add_co_u32 v11, s0, v9, s18
	v_add_co_ci_u32_e64 v12, s0, s19, v10, s0
	v_lshl_or_b32 v14, v0, 16, v1
	v_add_co_u32 v0, s0, v11, s18
	v_add_co_ci_u32_e64 v1, s0, s19, v12, s0
	global_store_dword v[7:8], v15, off
	global_store_dword v[5:6], v16, off
	;; [unrolled: 1-line block ×5, first 2 shown]
	s_and_b32 exec_lo, exec_lo, vcc_lo
	s_cbranch_execz .LBB0_23
; %bb.22:
	s_clause 0x3
	global_load_dword v8, v[25:26], off offset:256
	global_load_dword v9, v[25:26], off offset:576
	;; [unrolled: 1-line block ×4, first 2 shown]
	ds_read2_b32 v[4:5], v42 offset0:64 offset1:144
	ds_read2_b32 v[6:7], v3 offset0:96 offset1:176
	v_mad_u64_u32 v[0:1], null, 0xfffff840, s8, v[0:1]
	s_mul_i32 s0, s9, 0xfffff840
	s_sub_i32 s0, s0, s8
	v_add_nc_u32_e32 v1, s0, v1
	v_add_co_u32 v20, vcc_lo, v0, s18
	v_add_co_ci_u32_e32 v21, vcc_lo, s19, v1, vcc_lo
	v_add_co_u32 v27, vcc_lo, v20, s18
	s_waitcnt lgkmcnt(1)
	v_lshrrev_b32_e32 v3, 16, v4
	v_lshrrev_b32_e32 v11, 16, v5
	s_waitcnt lgkmcnt(0)
	v_lshrrev_b32_e32 v14, 16, v6
	v_lshrrev_b32_e32 v15, 16, v7
	v_add_co_ci_u32_e32 v28, vcc_lo, s19, v21, vcc_lo
	s_waitcnt vmcnt(3)
	v_mul_f16_sdwa v13, v3, v8 dst_sel:DWORD dst_unused:UNUSED_PAD src0_sel:DWORD src1_sel:WORD_1
	v_mul_f16_sdwa v16, v4, v8 dst_sel:DWORD dst_unused:UNUSED_PAD src0_sel:DWORD src1_sel:WORD_1
	s_waitcnt vmcnt(2)
	v_mul_f16_sdwa v17, v11, v9 dst_sel:DWORD dst_unused:UNUSED_PAD src0_sel:DWORD src1_sel:WORD_1
	s_waitcnt vmcnt(1)
	v_mul_f16_sdwa v18, v14, v10 dst_sel:DWORD dst_unused:UNUSED_PAD src0_sel:DWORD src1_sel:WORD_1
	v_mul_f16_sdwa v19, v6, v10 dst_sel:DWORD dst_unused:UNUSED_PAD src0_sel:DWORD src1_sel:WORD_1
	v_fmac_f16_e32 v13, v4, v8
	v_mul_f16_sdwa v4, v5, v9 dst_sel:DWORD dst_unused:UNUSED_PAD src0_sel:DWORD src1_sel:WORD_1
	v_fma_f16 v3, v8, v3, -v16
	v_fmac_f16_e32 v17, v5, v9
	v_fmac_f16_e32 v18, v6, v10
	v_cvt_f32_f16_e32 v8, v13
	v_fma_f16 v5, v9, v11, -v4
	v_cvt_f32_f16_e32 v9, v3
	s_waitcnt vmcnt(0)
	v_mul_f16_sdwa v16, v15, v12 dst_sel:DWORD dst_unused:UNUSED_PAD src0_sel:DWORD src1_sel:WORD_1
	v_mul_f16_sdwa v13, v7, v12 dst_sel:DWORD dst_unused:UNUSED_PAD src0_sel:DWORD src1_sel:WORD_1
	v_cvt_f64_f32_e32 v[3:4], v8
	v_cvt_f32_f16_e32 v8, v17
	v_cvt_f32_f16_e32 v11, v5
	v_cvt_f64_f32_e32 v[5:6], v9
	v_fma_f16 v14, v10, v14, -v19
	v_cvt_f32_f16_e32 v17, v18
	v_cvt_f64_f32_e32 v[8:9], v8
	v_cvt_f64_f32_e32 v[10:11], v11
	v_fmac_f16_e32 v16, v7, v12
	v_fma_f16 v7, v12, v15, -v13
	v_cvt_f32_f16_e32 v14, v14
	v_cvt_f64_f32_e32 v[12:13], v17
	v_cvt_f32_f16_e32 v16, v16
	v_cvt_f32_f16_e32 v7, v7
	v_cvt_f64_f32_e32 v[14:15], v14
	v_cvt_f64_f32_e32 v[16:17], v16
	;; [unrolled: 1-line block ×3, first 2 shown]
	v_mul_f64 v[3:4], v[3:4], s[16:17]
	v_mul_f64 v[5:6], v[5:6], s[16:17]
	;; [unrolled: 1-line block ×8, first 2 shown]
	v_and_or_b32 v3, 0x1ff, v4, v3
	v_lshrrev_b32_e32 v19, 8, v4
	v_bfe_u32 v22, v4, 20, 11
	v_and_or_b32 v5, 0x1ff, v6, v5
	v_lshrrev_b32_e32 v29, 8, v6
	v_cmp_ne_u32_e32 vcc_lo, 0, v3
	v_and_or_b32 v7, 0x1ff, v8, v7
	v_and_or_b32 v9, 0x1ff, v10, v9
	v_bfe_u32 v30, v6, 20, 11
	v_lshrrev_b32_e32 v31, 8, v8
	v_cndmask_b32_e64 v3, 0, 1, vcc_lo
	v_cmp_ne_u32_e32 vcc_lo, 0, v5
	v_and_or_b32 v11, 0x1ff, v12, v11
	v_bfe_u32 v32, v8, 20, 11
	v_bfe_u32 v34, v10, 20, 11
	v_and_or_b32 v13, 0x1ff, v14, v13
	v_cndmask_b32_e64 v5, 0, 1, vcc_lo
	v_cmp_ne_u32_e32 vcc_lo, 0, v7
	v_and_or_b32 v15, 0x1ff, v16, v15
	v_and_or_b32 v17, 0x1ff, v18, v17
	;; [unrolled: 1-line block ×3, first 2 shown]
	v_sub_nc_u32_e32 v44, 0x3f1, v22
	v_cndmask_b32_e64 v7, 0, 1, vcc_lo
	v_cmp_ne_u32_e32 vcc_lo, 0, v9
	v_add_nc_u32_e32 v22, 0xfffffc10, v22
	v_sub_nc_u32_e32 v45, 0x3f1, v30
	v_and_or_b32 v5, 0xffe, v29, v5
	v_lshrrev_b32_e32 v33, 8, v10
	v_cndmask_b32_e64 v9, 0, 1, vcc_lo
	v_cmp_ne_u32_e32 vcc_lo, 0, v11
	v_bfe_u32 v36, v12, 20, 11
	v_bfe_u32 v38, v14, 20, 11
	v_add_nc_u32_e32 v30, 0xfffffc10, v30
	v_sub_nc_u32_e32 v46, 0x3f1, v32
	v_cndmask_b32_e64 v11, 0, 1, vcc_lo
	v_cmp_ne_u32_e32 vcc_lo, 0, v13
	v_sub_nc_u32_e32 v47, 0x3f1, v34
	v_med3_i32 v19, v44, 0, 13
	v_med3_i32 v29, v45, 0, 13
	v_and_or_b32 v7, 0xffe, v31, v7
	v_cndmask_b32_e64 v13, 0, 1, vcc_lo
	v_cmp_ne_u32_e32 vcc_lo, 0, v15
	v_or_b32_e32 v44, 0x1000, v3
	v_lshl_or_b32 v45, v22, 12, v3
	v_lshrrev_b32_e32 v35, 8, v12
	v_lshrrev_b32_e32 v37, 8, v14
	v_cndmask_b32_e64 v15, 0, 1, vcc_lo
	v_cmp_ne_u32_e32 vcc_lo, 0, v17
	v_bfe_u32 v40, v16, 20, 11
	v_bfe_u32 v43, v18, 20, 11
	v_add_nc_u32_e32 v32, 0xfffffc10, v32
	v_sub_nc_u32_e32 v48, 0x3f1, v36
	v_cndmask_b32_e64 v17, 0, 1, vcc_lo
	v_cmp_ne_u32_e32 vcc_lo, 0, v3
	v_sub_nc_u32_e32 v49, 0x3f1, v38
	v_med3_i32 v31, v46, 0, 13
	v_and_or_b32 v9, 0xffe, v33, v9
	v_med3_i32 v33, v47, 0, 13
	v_cndmask_b32_e64 v3, 0, 1, vcc_lo
	v_cmp_ne_u32_e32 vcc_lo, 0, v5
	v_or_b32_e32 v46, 0x1000, v5
	v_lshl_or_b32 v47, v30, 12, v5
	v_lshrrev_b32_e32 v39, 8, v16
	v_lshrrev_b32_e32 v41, 8, v18
	v_cndmask_b32_e64 v5, 0, 1, vcc_lo
	v_cmp_ne_u32_e32 vcc_lo, 0, v7
	v_add_nc_u32_e32 v34, 0xfffffc10, v34
	v_sub_nc_u32_e32 v50, 0x3f1, v40
	v_sub_nc_u32_e32 v51, 0x3f1, v43
	v_and_or_b32 v11, 0xffe, v35, v11
	v_med3_i32 v35, v48, 0, 13
	v_and_or_b32 v13, 0xffe, v37, v13
	v_med3_i32 v37, v49, 0, 13
	v_or_b32_e32 v48, 0x1000, v7
	v_lshl_or_b32 v49, v32, 12, v7
	v_cndmask_b32_e64 v7, 0, 1, vcc_lo
	v_cmp_ne_u32_e32 vcc_lo, 0, v9
	v_add_nc_u32_e32 v36, 0xfffffc10, v36
	v_and_or_b32 v15, 0xffe, v39, v15
	v_med3_i32 v39, v50, 0, 13
	v_and_or_b32 v17, 0xffe, v41, v17
	v_med3_i32 v41, v51, 0, 13
	v_or_b32_e32 v50, 0x1000, v9
	v_lshl_or_b32 v51, v34, 12, v9
	v_cndmask_b32_e64 v9, 0, 1, vcc_lo
	v_cmp_ne_u32_e32 vcc_lo, 0, v11
	v_add_nc_u32_e32 v38, 0xfffffc10, v38
	v_or_b32_e32 v52, 0x1000, v11
	v_lshl_or_b32 v53, v36, 12, v11
	v_add_nc_u32_e32 v40, 0xfffffc10, v40
	v_cndmask_b32_e64 v11, 0, 1, vcc_lo
	v_cmp_ne_u32_e32 vcc_lo, 0, v13
	v_or_b32_e32 v54, 0x1000, v13
	v_lshl_or_b32 v55, v38, 12, v13
	v_lshrrev_b32_e32 v60, v19, v44
	v_add_nc_u32_e32 v43, 0xfffffc10, v43
	v_cndmask_b32_e64 v13, 0, 1, vcc_lo
	v_cmp_ne_u32_e32 vcc_lo, 0, v15
	v_or_b32_e32 v56, 0x1000, v15
	v_lshl_or_b32 v57, v40, 12, v15
	v_lshrrev_b32_e32 v61, v29, v46
	v_lshlrev_b32_e32 v19, v19, v60
	v_cndmask_b32_e64 v15, 0, 1, vcc_lo
	v_cmp_ne_u32_e32 vcc_lo, 0, v17
	v_or_b32_e32 v58, 0x1000, v17
	v_lshl_or_b32 v59, v43, 12, v17
	v_lshrrev_b32_e32 v62, v31, v48
	v_lshlrev_b32_e32 v29, v29, v61
	v_cndmask_b32_e64 v17, 0, 1, vcc_lo
	v_cmp_ne_u32_e32 vcc_lo, v19, v44
	v_lshrrev_b32_e32 v63, v33, v50
	v_lshlrev_b32_e32 v31, v31, v62
	v_lshrrev_b32_e32 v64, v35, v52
	v_lshrrev_b32_e32 v65, v37, v54
	v_cndmask_b32_e64 v19, 0, 1, vcc_lo
	v_cmp_ne_u32_e32 vcc_lo, v29, v46
	v_lshlrev_b32_e32 v33, v33, v63
	v_lshlrev_b32_e32 v35, v35, v64
	v_lshrrev_b32_e32 v66, v39, v56
	v_lshlrev_b32_e32 v37, v37, v65
	v_cndmask_b32_e64 v29, 0, 1, vcc_lo
	v_cmp_ne_u32_e32 vcc_lo, v31, v48
	v_lshrrev_b32_e32 v67, v41, v58
	v_lshlrev_b32_e32 v39, v39, v66
	v_or_b32_e32 v19, v60, v19
	v_or_b32_e32 v29, v61, v29
	v_cndmask_b32_e64 v31, 0, 1, vcc_lo
	v_cmp_ne_u32_e32 vcc_lo, v33, v50
	v_lshlrev_b32_e32 v41, v41, v67
	v_lshl_or_b32 v3, v3, 9, 0x7c00
	v_lshl_or_b32 v5, v5, 9, 0x7c00
	v_or_b32_e32 v31, v62, v31
	v_cndmask_b32_e64 v33, 0, 1, vcc_lo
	v_cmp_ne_u32_e32 vcc_lo, v35, v52
	v_lshl_or_b32 v7, v7, 9, 0x7c00
	v_lshl_or_b32 v9, v9, 9, 0x7c00
	;; [unrolled: 1-line block ×3, first 2 shown]
	v_or_b32_e32 v33, v63, v33
	v_cndmask_b32_e64 v35, 0, 1, vcc_lo
	v_cmp_ne_u32_e32 vcc_lo, v37, v54
	v_lshl_or_b32 v13, v13, 9, 0x7c00
	v_lshl_or_b32 v15, v15, 9, 0x7c00
	v_lshrrev_b32_e32 v4, 16, v4
	v_or_b32_e32 v35, v64, v35
	v_cndmask_b32_e64 v37, 0, 1, vcc_lo
	v_cmp_ne_u32_e32 vcc_lo, v39, v56
	v_lshrrev_b32_e32 v8, 16, v8
	v_lshrrev_b32_e32 v12, 16, v12
	;; [unrolled: 1-line block ×3, first 2 shown]
	v_or_b32_e32 v37, v65, v37
	v_cndmask_b32_e64 v39, 0, 1, vcc_lo
	v_cmp_ne_u32_e32 vcc_lo, v41, v58
	v_lshrrev_b32_e32 v10, 16, v10
	v_lshrrev_b32_e32 v16, 16, v16
	v_lshl_or_b32 v17, v17, 9, 0x7c00
	v_or_b32_e32 v39, v66, v39
	v_cndmask_b32_e64 v41, 0, 1, vcc_lo
	v_cmp_gt_i32_e32 vcc_lo, 1, v22
	v_lshrrev_b32_e32 v14, 16, v14
	v_lshrrev_b32_e32 v18, 16, v18
	v_or_b32_e32 v41, v67, v41
	v_cndmask_b32_e32 v19, v45, v19, vcc_lo
	v_cmp_gt_i32_e32 vcc_lo, 1, v30
	v_and_b32_e32 v44, 7, v19
	v_cndmask_b32_e32 v29, v47, v29, vcc_lo
	v_cmp_gt_i32_e32 vcc_lo, 1, v32
	v_lshrrev_b32_e32 v19, 2, v19
	v_cmp_eq_u32_e64 s0, 3, v44
	v_and_b32_e32 v45, 7, v29
	v_cndmask_b32_e32 v31, v49, v31, vcc_lo
	v_cmp_gt_i32_e32 vcc_lo, 1, v34
	v_lshrrev_b32_e32 v29, 2, v29
	v_cmp_lt_i32_e64 s1, 5, v45
	v_and_b32_e32 v46, 7, v31
	v_cndmask_b32_e32 v33, v51, v33, vcc_lo
	v_cmp_gt_i32_e32 vcc_lo, 1, v36
	v_cmp_eq_u32_e64 s2, 3, v45
	v_lshrrev_b32_e32 v31, 2, v31
	v_cmp_lt_i32_e64 s3, 5, v46
	v_and_b32_e32 v47, 7, v33
	v_cndmask_b32_e32 v35, v53, v35, vcc_lo
	v_cmp_gt_i32_e32 vcc_lo, 1, v38
	v_cmp_eq_u32_e64 s4, 3, v46
	;; [unrolled: 6-line block ×4, first 2 shown]
	v_lshrrev_b32_e32 v37, 2, v37
	v_cmp_lt_i32_e64 s9, 5, v49
	v_and_b32_e32 v50, 7, v39
	v_cndmask_b32_e32 v41, v59, v41, vcc_lo
	v_cmp_lt_i32_e32 vcc_lo, 5, v44
	v_cmp_eq_u32_e64 s10, 3, v49
	v_lshrrev_b32_e32 v39, 2, v39
	v_cmp_lt_i32_e64 s11, 5, v50
	v_and_b32_e32 v51, 7, v41
	s_or_b32 vcc_lo, s0, vcc_lo
	v_cmp_eq_u32_e64 s12, 3, v50
	v_add_co_ci_u32_e32 v19, vcc_lo, 0, v19, vcc_lo
	s_or_b32 vcc_lo, s2, s1
	v_cmp_lt_i32_e64 s13, 5, v51
	v_add_co_ci_u32_e32 v29, vcc_lo, 0, v29, vcc_lo
	s_or_b32 vcc_lo, s4, s3
	v_cmp_eq_u32_e64 s14, 3, v51
	v_add_co_ci_u32_e32 v31, vcc_lo, 0, v31, vcc_lo
	s_or_b32 vcc_lo, s6, s5
	v_lshrrev_b32_e32 v41, 2, v41
	v_add_co_ci_u32_e32 v33, vcc_lo, 0, v33, vcc_lo
	s_or_b32 vcc_lo, s8, s7
	v_add_co_ci_u32_e32 v35, vcc_lo, 0, v35, vcc_lo
	s_or_b32 vcc_lo, s10, s9
	;; [unrolled: 2-line block ×4, first 2 shown]
	v_add_co_ci_u32_e32 v41, vcc_lo, 0, v41, vcc_lo
	v_cmp_gt_i32_e32 vcc_lo, 31, v22
	v_cndmask_b32_e32 v19, 0x7c00, v19, vcc_lo
	v_cmp_gt_i32_e32 vcc_lo, 31, v30
	v_cndmask_b32_e32 v29, 0x7c00, v29, vcc_lo
	;; [unrolled: 2-line block ×8, first 2 shown]
	v_cmp_eq_u32_e32 vcc_lo, 0x40f, v22
	v_cndmask_b32_e32 v3, v19, v3, vcc_lo
	v_cmp_eq_u32_e32 vcc_lo, 0x40f, v30
	v_and_or_b32 v3, 0x8000, v4, v3
	v_cndmask_b32_e32 v5, v29, v5, vcc_lo
	v_cmp_eq_u32_e32 vcc_lo, 0x40f, v32
	v_and_or_b32 v5, 0x8000, v6, v5
	;; [unrolled: 3-line block ×5, first 2 shown]
	v_cndmask_b32_e32 v13, v37, v13, vcc_lo
	v_cmp_eq_u32_e32 vcc_lo, 0x40f, v40
	v_and_b32_e32 v11, 0xffff, v3
	v_and_b32_e32 v12, 0xffff, v4
	;; [unrolled: 1-line block ×3, first 2 shown]
	v_and_or_b32 v8, 0x8000, v14, v13
	v_cndmask_b32_e32 v15, v39, v15, vcc_lo
	v_cmp_eq_u32_e32 vcc_lo, 0x40f, v43
	v_lshl_or_b32 v5, v5, 16, v11
	v_lshl_or_b32 v6, v6, 16, v12
	;; [unrolled: 1-line block ×3, first 2 shown]
	v_and_or_b32 v9, 0x8000, v16, v15
	v_cndmask_b32_e32 v17, v41, v17, vcc_lo
	v_add_co_u32 v3, vcc_lo, v27, s18
	v_add_co_ci_u32_e32 v4, vcc_lo, s19, v28, vcc_lo
	v_and_or_b32 v10, 0x8000, v18, v17
	v_and_b32_e32 v9, 0xffff, v9
	v_lshl_or_b32 v8, v10, 16, v9
	global_store_dword v[0:1], v5, off
	global_store_dword v[20:21], v6, off
	;; [unrolled: 1-line block ×4, first 2 shown]
	global_load_dword v5, v[25:26], off offset:1536
	ds_read2_b32 v[0:1], v2 offset0:128 offset1:208
	s_waitcnt lgkmcnt(0)
	v_lshrrev_b32_e32 v2, 16, v0
	s_waitcnt vmcnt(0)
	v_mul_f16_sdwa v6, v2, v5 dst_sel:DWORD dst_unused:UNUSED_PAD src0_sel:DWORD src1_sel:WORD_1
	v_mul_f16_sdwa v7, v0, v5 dst_sel:DWORD dst_unused:UNUSED_PAD src0_sel:DWORD src1_sel:WORD_1
	v_fmac_f16_e32 v6, v0, v5
	v_fma_f16 v0, v5, v2, -v7
	v_cvt_f32_f16_e32 v2, v6
	v_cvt_f32_f16_e32 v0, v0
	v_cvt_f64_f32_e32 v[5:6], v2
	v_cvt_f64_f32_e32 v[7:8], v0
	v_mul_f64 v[5:6], v[5:6], s[16:17]
	v_mul_f64 v[7:8], v[7:8], s[16:17]
	v_and_or_b32 v0, 0x1ff, v6, v5
	v_and_or_b32 v7, 0x1ff, v8, v7
	v_lshrrev_b32_e32 v2, 8, v6
	v_bfe_u32 v5, v6, 20, 11
	v_lshrrev_b32_e32 v9, 8, v8
	v_cmp_ne_u32_e32 vcc_lo, 0, v0
	v_bfe_u32 v10, v8, 20, 11
	v_lshrrev_b32_e32 v6, 16, v6
	v_sub_nc_u32_e32 v11, 0x3f1, v5
	v_add_nc_u32_e32 v5, 0xfffffc10, v5
	v_cndmask_b32_e64 v0, 0, 1, vcc_lo
	v_cmp_ne_u32_e32 vcc_lo, 0, v7
	v_and_or_b32 v0, 0xffe, v2, v0
	v_cndmask_b32_e64 v7, 0, 1, vcc_lo
	v_sub_nc_u32_e32 v2, 0x3f1, v10
	v_add_nc_u32_e32 v10, 0xfffffc10, v10
	v_and_or_b32 v7, 0xffe, v9, v7
	v_med3_i32 v9, v11, 0, 13
	v_or_b32_e32 v11, 0x1000, v0
	v_med3_i32 v2, v2, 0, 13
	v_or_b32_e32 v12, 0x1000, v7
	v_lshrrev_b32_e32 v13, v9, v11
	v_lshrrev_b32_e32 v14, v2, v12
	v_lshlrev_b32_e32 v9, v9, v13
	v_lshlrev_b32_e32 v2, v2, v14
	v_cmp_ne_u32_e32 vcc_lo, v9, v11
	v_lshl_or_b32 v11, v5, 12, v0
	v_cndmask_b32_e64 v9, 0, 1, vcc_lo
	v_cmp_ne_u32_e32 vcc_lo, v2, v12
	v_lshl_or_b32 v12, v10, 12, v7
	v_or_b32_e32 v9, v13, v9
	v_cndmask_b32_e64 v2, 0, 1, vcc_lo
	v_cmp_gt_i32_e32 vcc_lo, 1, v5
	v_or_b32_e32 v2, v14, v2
	v_cndmask_b32_e32 v9, v11, v9, vcc_lo
	v_cmp_gt_i32_e32 vcc_lo, 1, v10
	v_and_b32_e32 v11, 7, v9
	v_cndmask_b32_e32 v2, v12, v2, vcc_lo
	v_cmp_ne_u32_e32 vcc_lo, 0, v0
	v_lshrrev_b32_e32 v9, 2, v9
	v_cmp_eq_u32_e64 s0, 3, v11
	v_and_b32_e32 v12, 7, v2
	v_cndmask_b32_e64 v0, 0, 1, vcc_lo
	v_cmp_ne_u32_e32 vcc_lo, 0, v7
	v_lshrrev_b32_e32 v2, 2, v2
	v_cmp_lt_i32_e64 s1, 5, v12
	v_cmp_eq_u32_e64 s2, 3, v12
	v_cndmask_b32_e64 v7, 0, 1, vcc_lo
	v_cmp_lt_i32_e32 vcc_lo, 5, v11
	v_lshl_or_b32 v0, v0, 9, 0x7c00
	v_lshl_or_b32 v7, v7, 9, 0x7c00
	s_or_b32 vcc_lo, s0, vcc_lo
	v_add_co_ci_u32_e32 v9, vcc_lo, 0, v9, vcc_lo
	s_or_b32 vcc_lo, s2, s1
	v_add_co_ci_u32_e32 v2, vcc_lo, 0, v2, vcc_lo
	v_cmp_gt_i32_e32 vcc_lo, 31, v5
	v_cndmask_b32_e32 v9, 0x7c00, v9, vcc_lo
	v_cmp_gt_i32_e32 vcc_lo, 31, v10
	v_cndmask_b32_e32 v2, 0x7c00, v2, vcc_lo
	v_cmp_eq_u32_e32 vcc_lo, 0x40f, v5
	v_lshrrev_b32_e32 v5, 16, v8
	v_cndmask_b32_e32 v0, v9, v0, vcc_lo
	v_cmp_eq_u32_e32 vcc_lo, 0x40f, v10
	v_and_or_b32 v0, 0x8000, v6, v0
	v_cndmask_b32_e32 v2, v2, v7, vcc_lo
	v_and_b32_e32 v0, 0xffff, v0
	v_and_or_b32 v5, 0x8000, v5, v2
	v_add_co_u32 v2, vcc_lo, v3, s18
	v_add_co_ci_u32_e32 v3, vcc_lo, s19, v4, vcc_lo
	v_lshl_or_b32 v0, v5, 16, v0
	v_lshrrev_b32_e32 v4, 16, v1
	global_store_dword v[2:3], v0, off
	global_load_dword v0, v[25:26], off offset:1856
	s_waitcnt vmcnt(0)
	v_mul_f16_sdwa v5, v4, v0 dst_sel:DWORD dst_unused:UNUSED_PAD src0_sel:DWORD src1_sel:WORD_1
	v_mul_f16_sdwa v6, v1, v0 dst_sel:DWORD dst_unused:UNUSED_PAD src0_sel:DWORD src1_sel:WORD_1
	v_fmac_f16_e32 v5, v1, v0
	v_fma_f16 v0, v0, v4, -v6
	v_cvt_f32_f16_e32 v1, v5
	v_cvt_f32_f16_e32 v4, v0
	v_cvt_f64_f32_e32 v[0:1], v1
	v_cvt_f64_f32_e32 v[4:5], v4
	v_mul_f64 v[0:1], v[0:1], s[16:17]
	v_mul_f64 v[4:5], v[4:5], s[16:17]
	v_and_or_b32 v0, 0x1ff, v1, v0
	v_and_or_b32 v4, 0x1ff, v5, v4
	v_lshrrev_b32_e32 v6, 8, v1
	v_bfe_u32 v7, v1, 20, 11
	v_lshrrev_b32_e32 v8, 8, v5
	v_cmp_ne_u32_e32 vcc_lo, 0, v0
	v_bfe_u32 v9, v5, 20, 11
	v_lshrrev_b32_e32 v1, 16, v1
	v_sub_nc_u32_e32 v10, 0x3f1, v7
	v_add_nc_u32_e32 v7, 0xfffffc10, v7
	v_cndmask_b32_e64 v0, 0, 1, vcc_lo
	v_cmp_ne_u32_e32 vcc_lo, 0, v4
	v_lshrrev_b32_e32 v5, 16, v5
	v_and_or_b32 v0, 0xffe, v6, v0
	v_cndmask_b32_e64 v4, 0, 1, vcc_lo
	v_sub_nc_u32_e32 v6, 0x3f1, v9
	v_add_nc_u32_e32 v9, 0xfffffc10, v9
	v_and_or_b32 v4, 0xffe, v8, v4
	v_med3_i32 v8, v10, 0, 13
	v_or_b32_e32 v10, 0x1000, v0
	v_med3_i32 v6, v6, 0, 13
	v_or_b32_e32 v11, 0x1000, v4
	v_lshrrev_b32_e32 v12, v8, v10
	v_lshrrev_b32_e32 v13, v6, v11
	v_lshlrev_b32_e32 v8, v8, v12
	v_lshlrev_b32_e32 v6, v6, v13
	v_cmp_ne_u32_e32 vcc_lo, v8, v10
	v_lshl_or_b32 v10, v7, 12, v0
	v_cndmask_b32_e64 v8, 0, 1, vcc_lo
	v_cmp_ne_u32_e32 vcc_lo, v6, v11
	v_lshl_or_b32 v11, v9, 12, v4
	v_or_b32_e32 v8, v12, v8
	v_cndmask_b32_e64 v6, 0, 1, vcc_lo
	v_cmp_gt_i32_e32 vcc_lo, 1, v7
	v_or_b32_e32 v6, v13, v6
	v_cndmask_b32_e32 v8, v10, v8, vcc_lo
	v_cmp_gt_i32_e32 vcc_lo, 1, v9
	v_and_b32_e32 v10, 7, v8
	v_cndmask_b32_e32 v6, v11, v6, vcc_lo
	v_cmp_ne_u32_e32 vcc_lo, 0, v0
	v_lshrrev_b32_e32 v8, 2, v8
	v_cmp_eq_u32_e64 s0, 3, v10
	v_and_b32_e32 v11, 7, v6
	v_cndmask_b32_e64 v0, 0, 1, vcc_lo
	v_cmp_ne_u32_e32 vcc_lo, 0, v4
	v_lshrrev_b32_e32 v6, 2, v6
	v_cmp_lt_i32_e64 s1, 5, v11
	v_cmp_eq_u32_e64 s2, 3, v11
	v_cndmask_b32_e64 v4, 0, 1, vcc_lo
	v_cmp_lt_i32_e32 vcc_lo, 5, v10
	v_lshl_or_b32 v0, v0, 9, 0x7c00
	v_lshl_or_b32 v4, v4, 9, 0x7c00
	s_or_b32 vcc_lo, s0, vcc_lo
	v_add_co_ci_u32_e32 v8, vcc_lo, 0, v8, vcc_lo
	s_or_b32 vcc_lo, s2, s1
	v_add_co_ci_u32_e32 v6, vcc_lo, 0, v6, vcc_lo
	v_cmp_gt_i32_e32 vcc_lo, 31, v7
	v_cndmask_b32_e32 v8, 0x7c00, v8, vcc_lo
	v_cmp_gt_i32_e32 vcc_lo, 31, v9
	v_cndmask_b32_e32 v6, 0x7c00, v6, vcc_lo
	v_cmp_eq_u32_e32 vcc_lo, 0x40f, v7
	v_cndmask_b32_e32 v0, v8, v0, vcc_lo
	v_cmp_eq_u32_e32 vcc_lo, 0x40f, v9
	v_and_or_b32 v0, 0x8000, v1, v0
	v_cndmask_b32_e32 v4, v6, v4, vcc_lo
	v_and_or_b32 v4, 0x8000, v5, v4
	v_and_b32_e32 v5, 0xffff, v0
	v_add_co_u32 v0, vcc_lo, v2, s18
	v_add_co_ci_u32_e32 v1, vcc_lo, s19, v3, vcc_lo
	v_lshl_or_b32 v2, v4, 16, v5
	global_store_dword v[0:1], v2, off
	global_load_dword v4, v[23:24], off offset:128
	v_add_nc_u32_e32 v2, 0x800, v42
	ds_read2_b32 v[2:3], v2 offset0:32 offset1:112
	s_waitcnt lgkmcnt(0)
	v_lshrrev_b32_e32 v5, 16, v2
	s_waitcnt vmcnt(0)
	v_mul_f16_sdwa v6, v5, v4 dst_sel:DWORD dst_unused:UNUSED_PAD src0_sel:DWORD src1_sel:WORD_1
	v_mul_f16_sdwa v7, v2, v4 dst_sel:DWORD dst_unused:UNUSED_PAD src0_sel:DWORD src1_sel:WORD_1
	v_fmac_f16_e32 v6, v2, v4
	v_fma_f16 v2, v4, v5, -v7
	v_cvt_f32_f16_e32 v4, v6
	v_cvt_f32_f16_e32 v2, v2
	v_cvt_f64_f32_e32 v[4:5], v4
	v_cvt_f64_f32_e32 v[6:7], v2
	v_mul_f64 v[4:5], v[4:5], s[16:17]
	v_mul_f64 v[6:7], v[6:7], s[16:17]
	v_and_or_b32 v2, 0x1ff, v5, v4
	v_and_or_b32 v6, 0x1ff, v7, v6
	v_lshrrev_b32_e32 v4, 8, v5
	v_bfe_u32 v8, v5, 20, 11
	v_lshrrev_b32_e32 v9, 8, v7
	v_cmp_ne_u32_e32 vcc_lo, 0, v2
	v_bfe_u32 v10, v7, 20, 11
	v_lshrrev_b32_e32 v5, 16, v5
	v_sub_nc_u32_e32 v11, 0x3f1, v8
	v_add_nc_u32_e32 v8, 0xfffffc10, v8
	v_cndmask_b32_e64 v2, 0, 1, vcc_lo
	v_cmp_ne_u32_e32 vcc_lo, 0, v6
	v_lshrrev_b32_e32 v7, 16, v7
	v_and_or_b32 v2, 0xffe, v4, v2
	v_cndmask_b32_e64 v6, 0, 1, vcc_lo
	v_sub_nc_u32_e32 v4, 0x3f1, v10
	v_add_nc_u32_e32 v10, 0xfffffc10, v10
	v_and_or_b32 v6, 0xffe, v9, v6
	v_med3_i32 v9, v11, 0, 13
	v_or_b32_e32 v11, 0x1000, v2
	v_med3_i32 v4, v4, 0, 13
	v_or_b32_e32 v12, 0x1000, v6
	v_lshrrev_b32_e32 v13, v9, v11
	v_lshrrev_b32_e32 v14, v4, v12
	v_lshlrev_b32_e32 v9, v9, v13
	v_lshlrev_b32_e32 v4, v4, v14
	v_cmp_ne_u32_e32 vcc_lo, v9, v11
	v_lshl_or_b32 v11, v8, 12, v2
	v_cndmask_b32_e64 v9, 0, 1, vcc_lo
	v_cmp_ne_u32_e32 vcc_lo, v4, v12
	v_lshl_or_b32 v12, v10, 12, v6
	v_or_b32_e32 v9, v13, v9
	v_cndmask_b32_e64 v4, 0, 1, vcc_lo
	v_cmp_gt_i32_e32 vcc_lo, 1, v8
	v_or_b32_e32 v4, v14, v4
	v_cndmask_b32_e32 v9, v11, v9, vcc_lo
	v_cmp_gt_i32_e32 vcc_lo, 1, v10
	v_and_b32_e32 v11, 7, v9
	v_cndmask_b32_e32 v4, v12, v4, vcc_lo
	v_cmp_ne_u32_e32 vcc_lo, 0, v2
	v_lshrrev_b32_e32 v9, 2, v9
	v_cmp_eq_u32_e64 s0, 3, v11
	v_and_b32_e32 v12, 7, v4
	v_cndmask_b32_e64 v2, 0, 1, vcc_lo
	v_cmp_ne_u32_e32 vcc_lo, 0, v6
	v_lshrrev_b32_e32 v4, 2, v4
	v_cmp_lt_i32_e64 s1, 5, v12
	v_cmp_eq_u32_e64 s2, 3, v12
	v_cndmask_b32_e64 v6, 0, 1, vcc_lo
	v_cmp_lt_i32_e32 vcc_lo, 5, v11
	v_lshl_or_b32 v2, v2, 9, 0x7c00
	v_lshl_or_b32 v6, v6, 9, 0x7c00
	s_or_b32 vcc_lo, s0, vcc_lo
	v_add_co_ci_u32_e32 v9, vcc_lo, 0, v9, vcc_lo
	s_or_b32 vcc_lo, s2, s1
	v_add_co_ci_u32_e32 v4, vcc_lo, 0, v4, vcc_lo
	v_cmp_gt_i32_e32 vcc_lo, 31, v8
	v_cndmask_b32_e32 v9, 0x7c00, v9, vcc_lo
	v_cmp_gt_i32_e32 vcc_lo, 31, v10
	v_cndmask_b32_e32 v4, 0x7c00, v4, vcc_lo
	v_cmp_eq_u32_e32 vcc_lo, 0x40f, v8
	v_cndmask_b32_e32 v2, v9, v2, vcc_lo
	v_cmp_eq_u32_e32 vcc_lo, 0x40f, v10
	v_and_or_b32 v2, 0x8000, v5, v2
	v_cndmask_b32_e32 v4, v4, v6, vcc_lo
	v_add_co_u32 v0, vcc_lo, v0, s18
	v_add_co_ci_u32_e32 v1, vcc_lo, s19, v1, vcc_lo
	v_and_or_b32 v4, 0x8000, v7, v4
	v_and_b32_e32 v2, 0xffff, v2
	v_lshl_or_b32 v2, v4, 16, v2
	v_lshrrev_b32_e32 v4, 16, v3
	global_store_dword v[0:1], v2, off
	global_load_dword v2, v[23:24], off offset:448
	s_waitcnt vmcnt(0)
	v_mul_f16_sdwa v5, v4, v2 dst_sel:DWORD dst_unused:UNUSED_PAD src0_sel:DWORD src1_sel:WORD_1
	v_mul_f16_sdwa v6, v3, v2 dst_sel:DWORD dst_unused:UNUSED_PAD src0_sel:DWORD src1_sel:WORD_1
	v_fmac_f16_e32 v5, v3, v2
	v_fma_f16 v2, v2, v4, -v6
	v_cvt_f32_f16_e32 v3, v5
	v_cvt_f32_f16_e32 v4, v2
	v_cvt_f64_f32_e32 v[2:3], v3
	v_cvt_f64_f32_e32 v[4:5], v4
	v_mul_f64 v[2:3], v[2:3], s[16:17]
	v_mul_f64 v[4:5], v[4:5], s[16:17]
	v_and_or_b32 v2, 0x1ff, v3, v2
	v_and_or_b32 v4, 0x1ff, v5, v4
	v_lshrrev_b32_e32 v6, 8, v3
	v_bfe_u32 v7, v3, 20, 11
	v_lshrrev_b32_e32 v8, 8, v5
	v_cmp_ne_u32_e32 vcc_lo, 0, v2
	v_bfe_u32 v9, v5, 20, 11
	v_lshrrev_b32_e32 v3, 16, v3
	v_sub_nc_u32_e32 v10, 0x3f1, v7
	v_add_nc_u32_e32 v7, 0xfffffc10, v7
	v_cndmask_b32_e64 v2, 0, 1, vcc_lo
	v_cmp_ne_u32_e32 vcc_lo, 0, v4
	v_lshrrev_b32_e32 v5, 16, v5
	v_and_or_b32 v2, 0xffe, v6, v2
	v_cndmask_b32_e64 v4, 0, 1, vcc_lo
	v_sub_nc_u32_e32 v6, 0x3f1, v9
	v_add_nc_u32_e32 v9, 0xfffffc10, v9
	v_and_or_b32 v4, 0xffe, v8, v4
	v_med3_i32 v8, v10, 0, 13
	v_or_b32_e32 v10, 0x1000, v2
	v_med3_i32 v6, v6, 0, 13
	v_or_b32_e32 v11, 0x1000, v4
	v_lshrrev_b32_e32 v12, v8, v10
	v_lshrrev_b32_e32 v13, v6, v11
	v_lshlrev_b32_e32 v8, v8, v12
	v_lshlrev_b32_e32 v6, v6, v13
	v_cmp_ne_u32_e32 vcc_lo, v8, v10
	v_lshl_or_b32 v10, v7, 12, v2
	v_cndmask_b32_e64 v8, 0, 1, vcc_lo
	v_cmp_ne_u32_e32 vcc_lo, v6, v11
	v_lshl_or_b32 v11, v9, 12, v4
	v_or_b32_e32 v8, v12, v8
	v_cndmask_b32_e64 v6, 0, 1, vcc_lo
	v_cmp_gt_i32_e32 vcc_lo, 1, v7
	v_or_b32_e32 v6, v13, v6
	v_cndmask_b32_e32 v8, v10, v8, vcc_lo
	v_cmp_gt_i32_e32 vcc_lo, 1, v9
	v_and_b32_e32 v10, 7, v8
	v_cndmask_b32_e32 v6, v11, v6, vcc_lo
	v_cmp_ne_u32_e32 vcc_lo, 0, v2
	v_lshrrev_b32_e32 v8, 2, v8
	v_cmp_eq_u32_e64 s0, 3, v10
	v_and_b32_e32 v11, 7, v6
	v_cndmask_b32_e64 v2, 0, 1, vcc_lo
	v_cmp_ne_u32_e32 vcc_lo, 0, v4
	v_lshrrev_b32_e32 v6, 2, v6
	v_cmp_lt_i32_e64 s1, 5, v11
	v_cmp_eq_u32_e64 s2, 3, v11
	v_cndmask_b32_e64 v4, 0, 1, vcc_lo
	v_cmp_lt_i32_e32 vcc_lo, 5, v10
	v_lshl_or_b32 v2, v2, 9, 0x7c00
	v_lshl_or_b32 v4, v4, 9, 0x7c00
	s_or_b32 vcc_lo, s0, vcc_lo
	v_add_co_ci_u32_e32 v8, vcc_lo, 0, v8, vcc_lo
	s_or_b32 vcc_lo, s2, s1
	v_add_co_ci_u32_e32 v6, vcc_lo, 0, v6, vcc_lo
	v_cmp_gt_i32_e32 vcc_lo, 31, v7
	v_cndmask_b32_e32 v8, 0x7c00, v8, vcc_lo
	v_cmp_gt_i32_e32 vcc_lo, 31, v9
	v_cndmask_b32_e32 v6, 0x7c00, v6, vcc_lo
	v_cmp_eq_u32_e32 vcc_lo, 0x40f, v7
	v_cndmask_b32_e32 v2, v8, v2, vcc_lo
	v_cmp_eq_u32_e32 vcc_lo, 0x40f, v9
	v_and_or_b32 v2, 0x8000, v3, v2
	v_cndmask_b32_e32 v4, v6, v4, vcc_lo
	v_add_co_u32 v0, vcc_lo, v0, s18
	v_add_co_ci_u32_e32 v1, vcc_lo, s19, v1, vcc_lo
	v_and_or_b32 v3, 0x8000, v5, v4
	v_and_b32_e32 v2, 0xffff, v2
	v_lshl_or_b32 v2, v3, 16, v2
	global_store_dword v[0:1], v2, off
.LBB0_23:
	s_endpgm
	.section	.rodata,"a",@progbits
	.p2align	6, 0x0
	.amdhsa_kernel bluestein_single_fwd_len640_dim1_half_op_CI_CI
		.amdhsa_group_segment_fixed_size 5120
		.amdhsa_private_segment_fixed_size 0
		.amdhsa_kernarg_size 104
		.amdhsa_user_sgpr_count 6
		.amdhsa_user_sgpr_private_segment_buffer 1
		.amdhsa_user_sgpr_dispatch_ptr 0
		.amdhsa_user_sgpr_queue_ptr 0
		.amdhsa_user_sgpr_kernarg_segment_ptr 1
		.amdhsa_user_sgpr_dispatch_id 0
		.amdhsa_user_sgpr_flat_scratch_init 0
		.amdhsa_user_sgpr_private_segment_size 0
		.amdhsa_wavefront_size32 1
		.amdhsa_uses_dynamic_stack 0
		.amdhsa_system_sgpr_private_segment_wavefront_offset 0
		.amdhsa_system_sgpr_workgroup_id_x 1
		.amdhsa_system_sgpr_workgroup_id_y 0
		.amdhsa_system_sgpr_workgroup_id_z 0
		.amdhsa_system_sgpr_workgroup_info 0
		.amdhsa_system_vgpr_workitem_id 0
		.amdhsa_next_free_vgpr 98
		.amdhsa_next_free_sgpr 20
		.amdhsa_reserve_vcc 1
		.amdhsa_reserve_flat_scratch 0
		.amdhsa_float_round_mode_32 0
		.amdhsa_float_round_mode_16_64 0
		.amdhsa_float_denorm_mode_32 3
		.amdhsa_float_denorm_mode_16_64 3
		.amdhsa_dx10_clamp 1
		.amdhsa_ieee_mode 1
		.amdhsa_fp16_overflow 0
		.amdhsa_workgroup_processor_mode 1
		.amdhsa_memory_ordered 1
		.amdhsa_forward_progress 0
		.amdhsa_shared_vgpr_count 0
		.amdhsa_exception_fp_ieee_invalid_op 0
		.amdhsa_exception_fp_denorm_src 0
		.amdhsa_exception_fp_ieee_div_zero 0
		.amdhsa_exception_fp_ieee_overflow 0
		.amdhsa_exception_fp_ieee_underflow 0
		.amdhsa_exception_fp_ieee_inexact 0
		.amdhsa_exception_int_div_zero 0
	.end_amdhsa_kernel
	.text
.Lfunc_end0:
	.size	bluestein_single_fwd_len640_dim1_half_op_CI_CI, .Lfunc_end0-bluestein_single_fwd_len640_dim1_half_op_CI_CI
                                        ; -- End function
	.section	.AMDGPU.csdata,"",@progbits
; Kernel info:
; codeLenInByte = 20284
; NumSgprs: 22
; NumVgprs: 98
; ScratchSize: 0
; MemoryBound: 0
; FloatMode: 240
; IeeeMode: 1
; LDSByteSize: 5120 bytes/workgroup (compile time only)
; SGPRBlocks: 2
; VGPRBlocks: 12
; NumSGPRsForWavesPerEU: 22
; NumVGPRsForWavesPerEU: 98
; Occupancy: 9
; WaveLimiterHint : 1
; COMPUTE_PGM_RSRC2:SCRATCH_EN: 0
; COMPUTE_PGM_RSRC2:USER_SGPR: 6
; COMPUTE_PGM_RSRC2:TRAP_HANDLER: 0
; COMPUTE_PGM_RSRC2:TGID_X_EN: 1
; COMPUTE_PGM_RSRC2:TGID_Y_EN: 0
; COMPUTE_PGM_RSRC2:TGID_Z_EN: 0
; COMPUTE_PGM_RSRC2:TIDIG_COMP_CNT: 0
	.text
	.p2alignl 6, 3214868480
	.fill 48, 4, 3214868480
	.type	__hip_cuid_d40de64970b62f1a,@object ; @__hip_cuid_d40de64970b62f1a
	.section	.bss,"aw",@nobits
	.globl	__hip_cuid_d40de64970b62f1a
__hip_cuid_d40de64970b62f1a:
	.byte	0                               ; 0x0
	.size	__hip_cuid_d40de64970b62f1a, 1

	.ident	"AMD clang version 19.0.0git (https://github.com/RadeonOpenCompute/llvm-project roc-6.4.0 25133 c7fe45cf4b819c5991fe208aaa96edf142730f1d)"
	.section	".note.GNU-stack","",@progbits
	.addrsig
	.addrsig_sym __hip_cuid_d40de64970b62f1a
	.amdgpu_metadata
---
amdhsa.kernels:
  - .args:
      - .actual_access:  read_only
        .address_space:  global
        .offset:         0
        .size:           8
        .value_kind:     global_buffer
      - .actual_access:  read_only
        .address_space:  global
        .offset:         8
        .size:           8
        .value_kind:     global_buffer
      - .actual_access:  read_only
        .address_space:  global
        .offset:         16
        .size:           8
        .value_kind:     global_buffer
      - .actual_access:  read_only
        .address_space:  global
        .offset:         24
        .size:           8
        .value_kind:     global_buffer
      - .actual_access:  read_only
        .address_space:  global
        .offset:         32
        .size:           8
        .value_kind:     global_buffer
      - .offset:         40
        .size:           8
        .value_kind:     by_value
      - .address_space:  global
        .offset:         48
        .size:           8
        .value_kind:     global_buffer
      - .address_space:  global
        .offset:         56
        .size:           8
        .value_kind:     global_buffer
      - .address_space:  global
        .offset:         64
        .size:           8
        .value_kind:     global_buffer
      - .address_space:  global
        .offset:         72
        .size:           8
        .value_kind:     global_buffer
      - .offset:         80
        .size:           4
        .value_kind:     by_value
      - .address_space:  global
        .offset:         88
        .size:           8
        .value_kind:     global_buffer
      - .address_space:  global
        .offset:         96
        .size:           8
        .value_kind:     global_buffer
    .group_segment_fixed_size: 5120
    .kernarg_segment_align: 8
    .kernarg_segment_size: 104
    .language:       OpenCL C
    .language_version:
      - 2
      - 0
    .max_flat_workgroup_size: 128
    .name:           bluestein_single_fwd_len640_dim1_half_op_CI_CI
    .private_segment_fixed_size: 0
    .sgpr_count:     22
    .sgpr_spill_count: 0
    .symbol:         bluestein_single_fwd_len640_dim1_half_op_CI_CI.kd
    .uniform_work_group_size: 1
    .uses_dynamic_stack: false
    .vgpr_count:     98
    .vgpr_spill_count: 0
    .wavefront_size: 32
    .workgroup_processor_mode: 1
amdhsa.target:   amdgcn-amd-amdhsa--gfx1030
amdhsa.version:
  - 1
  - 2
...

	.end_amdgpu_metadata
